;; amdgpu-corpus repo=ROCm/rocFFT kind=compiled arch=gfx1030 opt=O3
	.text
	.amdgcn_target "amdgcn-amd-amdhsa--gfx1030"
	.amdhsa_code_object_version 6
	.protected	bluestein_single_back_len90_dim1_half_op_CI_CI ; -- Begin function bluestein_single_back_len90_dim1_half_op_CI_CI
	.globl	bluestein_single_back_len90_dim1_half_op_CI_CI
	.p2align	8
	.type	bluestein_single_back_len90_dim1_half_op_CI_CI,@function
bluestein_single_back_len90_dim1_half_op_CI_CI: ; @bluestein_single_back_len90_dim1_half_op_CI_CI
; %bb.0:
	s_load_dwordx4 s[12:15], s[4:5], 0x28
	v_mul_u32_u24_e32 v1, 0x1c72, v0
	v_lshrrev_b32_e32 v1, 16, v1
	v_mad_u64_u32 v[10:11], null, s6, 7, v[1:2]
	v_mov_b32_e32 v11, 0
                                        ; kill: def $vgpr2 killed $sgpr0 killed $exec
	s_mov_b32 s0, exec_lo
	s_waitcnt lgkmcnt(0)
	v_cmpx_gt_u64_e64 s[12:13], v[10:11]
	s_cbranch_execz .LBB0_23
; %bb.1:
	s_clause 0x1
	s_load_dwordx4 s[0:3], s[4:5], 0x18
	s_load_dwordx2 s[12:13], s[4:5], 0x0
	v_mul_lo_u16 v1, v1, 9
	v_sub_nc_u16 v13, v0, v1
	v_and_b32_e32 v39, 0xffff, v13
	v_or_b32_e32 v32, 48, v39
	v_lshlrev_b32_e32 v14, 2, v39
	s_waitcnt lgkmcnt(0)
	s_load_dwordx4 s[8:11], s[0:1], 0x0
	s_clause 0x3
	global_load_dword v42, v14, s[12:13]
	global_load_dword v41, v14, s[12:13] offset:120
	global_load_dword v36, v14, s[12:13] offset:276
	;; [unrolled: 1-line block ×3, first 2 shown]
	s_waitcnt lgkmcnt(0)
	v_mad_u64_u32 v[0:1], null, s10, v10, 0
	v_mad_u64_u32 v[2:3], null, s8, v39, 0
	s_mul_i32 s1, s9, 30
	s_mul_hi_u32 s7, s8, 30
	s_mul_i32 s0, s8, 30
	s_add_i32 s1, s7, s1
	s_mul_i32 s10, s9, 0xffffffcd
	s_lshl_b64 s[16:17], s[0:1], 2
	v_mad_u64_u32 v[4:5], null, s11, v10, v[1:2]
	v_mad_u64_u32 v[5:6], null, s8, v32, 0
	s_mul_hi_u32 s11, s8, 0xffffffcd
	s_mul_i32 s6, s8, 0xffffffcd
	s_sub_i32 s7, s11, s8
	v_mad_u64_u32 v[7:8], null, s9, v39, v[3:4]
	v_mov_b32_e32 v1, v4
	v_mov_b32_e32 v4, v6
	s_add_i32 s7, s7, s10
	s_lshl_b64 s[0:1], s[6:7], 2
	v_lshlrev_b64 v[0:1], 2, v[0:1]
	v_mov_b32_e32 v3, v7
	v_mad_u64_u32 v[6:7], null, s9, v32, v[4:5]
	v_lshlrev_b64 v[2:3], 2, v[2:3]
	v_add_co_u32 v8, vcc_lo, s14, v0
	v_add_co_ci_u32_e32 v9, vcc_lo, s15, v1, vcc_lo
	v_lshlrev_b64 v[4:5], 2, v[5:6]
	v_add_co_u32 v0, vcc_lo, v8, v2
	v_add_co_ci_u32_e32 v1, vcc_lo, v9, v3, vcc_lo
	v_add_co_u32 v2, vcc_lo, v0, s16
	v_add_co_ci_u32_e32 v3, vcc_lo, s17, v1, vcc_lo
	global_load_dword v15, v[0:1], off
	v_add_co_u32 v6, vcc_lo, v2, s16
	global_load_dword v17, v[2:3], off
	v_add_co_ci_u32_e32 v7, vcc_lo, s17, v3, vcc_lo
	v_add_co_u32 v4, vcc_lo, v8, v4
	v_add_co_ci_u32_e32 v5, vcc_lo, v9, v5, vcc_lo
	v_add_co_u32 v8, vcc_lo, v6, s0
	v_add_co_ci_u32_e32 v9, vcc_lo, s1, v7, vcc_lo
	global_load_dword v16, v[4:5], off
	v_add_co_u32 v11, vcc_lo, v8, s16
	v_add_co_ci_u32_e32 v12, vcc_lo, s17, v9, vcc_lo
	global_load_dword v40, v14, s[12:13] offset:240
	global_load_dword v18, v[6:7], off
	v_add_co_u32 v4, vcc_lo, v11, s16
	v_add_co_ci_u32_e32 v5, vcc_lo, s17, v12, vcc_lo
	global_load_dword v19, v[8:9], off
	s_clause 0x1
	global_load_dword v38, v14, s[12:13] offset:36
	global_load_dword v37, v14, s[12:13] offset:156
	global_load_dword v11, v[11:12], off
	v_add_co_u32 v2, vcc_lo, v4, s0
	v_add_co_ci_u32_e32 v3, vcc_lo, s1, v5, vcc_lo
	global_load_dword v4, v[4:5], off
	v_mul_hi_u32 v5, 0x24924925, v10
	v_cmp_gt_u16_e32 vcc_lo, 3, v13
	v_mad_u64_u32 v[0:1], null, 0xf0, s8, v[2:3]
	v_mad_u64_u32 v[6:7], null, 0xf0, s9, v[1:2]
	v_mov_b32_e32 v1, v6
	global_load_dword v2, v[2:3], off
	global_load_dword v35, v14, s[12:13] offset:72
	global_load_dword v3, v[0:1], off
	global_load_dword v33, v14, s[12:13] offset:312
	v_sub_nc_u32_e32 v6, v10, v5
	s_load_dwordx2 s[6:7], s[4:5], 0x38
	s_load_dwordx4 s[8:11], s[2:3], 0x0
	v_add_co_u32 v8, s2, s12, v14
	v_add_co_ci_u32_e64 v9, null, s13, 0, s2
	v_lshrrev_b32_e32 v6, 1, v6
	v_add_nc_u32_e32 v5, v6, v5
	v_lshrrev_b32_e32 v5, 2, v5
	v_mul_lo_u32 v5, v5, 7
	v_sub_nc_u32_e32 v5, v10, v5
	v_mul_u32_u24_e32 v5, 0x5a, v5
	v_lshlrev_b32_e32 v43, 2, v5
	v_add_nc_u32_e32 v31, v14, v43
	s_waitcnt vmcnt(13)
	v_lshrrev_b32_e32 v5, 16, v15
	v_mul_f16_sdwa v6, v42, v15 dst_sel:DWORD dst_unused:UNUSED_PAD src0_sel:WORD_1 src1_sel:DWORD
	s_waitcnt vmcnt(12)
	v_mul_f16_sdwa v20, v41, v17 dst_sel:DWORD dst_unused:UNUSED_PAD src0_sel:WORD_1 src1_sel:DWORD
	v_mul_f16_sdwa v14, v42, v5 dst_sel:DWORD dst_unused:UNUSED_PAD src0_sel:WORD_1 src1_sel:DWORD
	v_fma_f16 v5, v42, v5, -v6
	v_lshrrev_b32_e32 v6, 16, v17
	v_fmac_f16_e32 v14, v42, v15
	s_waitcnt vmcnt(11)
	v_lshrrev_b32_e32 v7, 16, v16
	v_mul_f16_sdwa v12, v34, v16 dst_sel:DWORD dst_unused:UNUSED_PAD src0_sel:WORD_1 src1_sel:DWORD
	v_pack_b32_f16 v5, v14, v5
	v_mul_f16_sdwa v21, v34, v7 dst_sel:DWORD dst_unused:UNUSED_PAD src0_sel:WORD_1 src1_sel:DWORD
	v_fma_f16 v7, v34, v7, -v12
	v_mul_f16_sdwa v12, v41, v6 dst_sel:DWORD dst_unused:UNUSED_PAD src0_sel:WORD_1 src1_sel:DWORD
	s_waitcnt vmcnt(9)
	v_lshrrev_b32_e32 v15, 16, v18
	v_fma_f16 v6, v41, v6, -v20
	v_mul_f16_sdwa v20, v40, v18 dst_sel:DWORD dst_unused:UNUSED_PAD src0_sel:WORD_1 src1_sel:DWORD
	v_fmac_f16_e32 v21, v34, v16
	v_fmac_f16_e32 v12, v41, v17
	v_mul_f16_sdwa v14, v40, v15 dst_sel:DWORD dst_unused:UNUSED_PAD src0_sel:WORD_1 src1_sel:DWORD
	s_waitcnt vmcnt(8)
	v_lshrrev_b32_e32 v16, 16, v19
	s_waitcnt vmcnt(7)
	v_mul_f16_sdwa v17, v38, v19 dst_sel:DWORD dst_unused:UNUSED_PAD src0_sel:WORD_1 src1_sel:DWORD
	v_fma_f16 v15, v40, v15, -v20
	v_pack_b32_f16 v6, v12, v6
	v_fmac_f16_e32 v14, v40, v18
	v_mul_f16_sdwa v12, v38, v16 dst_sel:DWORD dst_unused:UNUSED_PAD src0_sel:WORD_1 src1_sel:DWORD
	v_fma_f16 v16, v38, v16, -v17
	s_waitcnt vmcnt(5)
	v_lshrrev_b32_e32 v17, 16, v11
	v_mul_f16_sdwa v18, v37, v11 dst_sel:DWORD dst_unused:UNUSED_PAD src0_sel:WORD_1 src1_sel:DWORD
	ds_write_b32 v31, v6 offset:120
	v_pack_b32_f16 v6, v14, v15
	v_fmac_f16_e32 v12, v38, v19
	v_mul_f16_sdwa v14, v37, v17 dst_sel:DWORD dst_unused:UNUSED_PAD src0_sel:WORD_1 src1_sel:DWORD
	v_fma_f16 v15, v37, v17, -v18
	s_waitcnt vmcnt(4)
	v_lshrrev_b32_e32 v17, 16, v4
	v_mul_f16_sdwa v18, v36, v4 dst_sel:DWORD dst_unused:UNUSED_PAD src0_sel:WORD_1 src1_sel:DWORD
	ds_write_b32 v31, v6 offset:240
	v_fmac_f16_e32 v14, v37, v11
	v_pack_b32_f16 v6, v12, v16
	v_mul_f16_sdwa v12, v36, v17 dst_sel:DWORD dst_unused:UNUSED_PAD src0_sel:WORD_1 src1_sel:DWORD
	s_waitcnt vmcnt(3)
	v_lshrrev_b32_e32 v11, 16, v2
	s_waitcnt vmcnt(2)
	v_mul_f16_sdwa v16, v35, v2 dst_sel:DWORD dst_unused:UNUSED_PAD src0_sel:WORD_1 src1_sel:DWORD
	s_waitcnt vmcnt(1)
	v_lshrrev_b32_e32 v19, 16, v3
	v_fma_f16 v17, v36, v17, -v18
	v_fmac_f16_e32 v12, v36, v4
	v_mul_f16_sdwa v18, v35, v11 dst_sel:DWORD dst_unused:UNUSED_PAD src0_sel:WORD_1 src1_sel:DWORD
	v_fma_f16 v4, v35, v11, -v16
	s_waitcnt vmcnt(0)
	v_mul_f16_sdwa v11, v33, v19 dst_sel:DWORD dst_unused:UNUSED_PAD src0_sel:WORD_1 src1_sel:DWORD
	v_mul_f16_sdwa v16, v33, v3 dst_sel:DWORD dst_unused:UNUSED_PAD src0_sel:WORD_1 src1_sel:DWORD
	v_pack_b32_f16 v7, v21, v7
	v_fmac_f16_e32 v18, v35, v2
	v_pack_b32_f16 v2, v14, v15
	v_fmac_f16_e32 v11, v33, v3
	v_fma_f16 v3, v33, v19, -v16
	v_pack_b32_f16 v12, v12, v17
	v_pack_b32_f16 v4, v18, v4
	;; [unrolled: 1-line block ×3, first 2 shown]
	ds_write2_b32 v31, v5, v6 offset1:9
	ds_write_b32 v31, v4 offset:72
	ds_write2_b32 v31, v2, v7 offset0:39 offset1:48
	ds_write2_b32 v31, v12, v3 offset0:69 offset1:78
	s_and_saveexec_b32 s2, vcc_lo
	s_cbranch_execz .LBB0_3
; %bb.2:
	v_add_co_u32 v0, s0, v0, s0
	v_add_co_ci_u32_e64 v1, s0, s1, v1, s0
	v_add_co_u32 v2, s0, v0, s16
	v_add_co_ci_u32_e64 v3, s0, s17, v1, s0
	;; [unrolled: 2-line block ×3, first 2 shown]
	global_load_dword v0, v[0:1], off
	global_load_dword v1, v[8:9], off offset:108
	global_load_dword v2, v[2:3], off
	global_load_dword v3, v[4:5], off
	s_clause 0x1
	global_load_dword v4, v[8:9], off offset:228
	global_load_dword v5, v[8:9], off offset:348
	s_waitcnt vmcnt(5)
	v_lshrrev_b32_e32 v6, 16, v0
	s_waitcnt vmcnt(4)
	v_mul_f16_sdwa v7, v1, v0 dst_sel:DWORD dst_unused:UNUSED_PAD src0_sel:WORD_1 src1_sel:DWORD
	s_waitcnt vmcnt(3)
	v_lshrrev_b32_e32 v11, 16, v2
	s_waitcnt vmcnt(2)
	v_lshrrev_b32_e32 v12, 16, v3
	v_mul_f16_sdwa v13, v1, v6 dst_sel:DWORD dst_unused:UNUSED_PAD src0_sel:WORD_1 src1_sel:DWORD
	v_fma_f16 v6, v1, v6, -v7
	s_waitcnt vmcnt(1)
	v_mul_f16_sdwa v7, v4, v2 dst_sel:DWORD dst_unused:UNUSED_PAD src0_sel:WORD_1 src1_sel:DWORD
	v_mul_f16_sdwa v14, v4, v11 dst_sel:DWORD dst_unused:UNUSED_PAD src0_sel:WORD_1 src1_sel:DWORD
	s_waitcnt vmcnt(0)
	v_mul_f16_sdwa v15, v5, v12 dst_sel:DWORD dst_unused:UNUSED_PAD src0_sel:WORD_1 src1_sel:DWORD
	v_mul_f16_sdwa v16, v5, v3 dst_sel:DWORD dst_unused:UNUSED_PAD src0_sel:WORD_1 src1_sel:DWORD
	v_fmac_f16_e32 v13, v1, v0
	v_fma_f16 v0, v4, v11, -v7
	v_fmac_f16_e32 v14, v4, v2
	v_fmac_f16_e32 v15, v5, v3
	v_fma_f16 v1, v5, v12, -v16
	v_pack_b32_f16 v2, v13, v6
	v_pack_b32_f16 v0, v14, v0
	;; [unrolled: 1-line block ×3, first 2 shown]
	ds_write2_b32 v31, v2, v0 offset0:27 offset1:57
	ds_write_b32 v31, v1 offset:348
.LBB0_3:
	s_or_b32 exec_lo, exec_lo, s2
	s_waitcnt lgkmcnt(0)
	s_barrier
	buffer_gl0_inv
	ds_read2_b32 v[11:12], v31 offset1:9
	ds_read2_b32 v[3:4], v31 offset0:18 offset1:30
	ds_read2_b32 v[1:2], v31 offset0:60 offset1:69
	;; [unrolled: 1-line block ×3, first 2 shown]
	ds_read_b32 v7, v31 offset:312
                                        ; implicit-def: $vgpr13
                                        ; implicit-def: $vgpr0
	s_and_saveexec_b32 s0, vcc_lo
	s_cbranch_execz .LBB0_5
; %bb.4:
	ds_read2_b32 v[13:14], v31 offset0:27 offset1:57
	ds_read_b32 v0, v31 offset:348
.LBB0_5:
	s_or_b32 exec_lo, exec_lo, s0
	s_waitcnt lgkmcnt(3)
	v_pk_add_f16 v18, v11, v4
	s_waitcnt lgkmcnt(2)
	v_pk_add_f16 v22, v4, v1
	v_pk_add_f16 v4, v4, v1 neg_lo:[0,1] neg_hi:[0,1]
	s_waitcnt lgkmcnt(0)
	v_pk_add_f16 v23, v14, v0
	v_mul_lo_u16 v24, v39, 3
	v_pk_add_f16 v21, v13, v14
	v_pk_fma_f16 v11, v22, 0.5, v11 op_sel_hi:[1,0,1] neg_lo:[1,0,0] neg_hi:[1,0,0]
	v_pk_mul_f16 v4, 0x3aee, v4 op_sel_hi:[0,1]
	v_pk_add_f16 v14, v14, v0 neg_lo:[0,1] neg_hi:[0,1]
	v_pk_fma_f16 v13, v23, 0.5, v13 op_sel_hi:[1,0,1] neg_lo:[1,0,0] neg_hi:[1,0,0]
	v_and_b32_e32 v23, 0xffff, v24
	v_pk_add_f16 v1, v18, v1
	v_pk_add_f16 v24, v11, v4 op_sel:[0,1] op_sel_hi:[1,0]
	v_pk_add_f16 v4, v11, v4 op_sel:[0,1] op_sel_hi:[1,0] neg_lo:[0,1] neg_hi:[0,1]
	v_pk_mul_f16 v14, 0x3aee, v14 op_sel_hi:[0,1]
	v_lshl_add_u32 v44, v23, 2, v43
	v_pk_add_f16 v0, v21, v0
	s_load_dwordx2 s[0:1], s[4:5], 0x8
	v_bfi_b32 v11, 0xffff, v24, v4
	v_pk_add_f16 v21, v13, v14 op_sel:[0,1] op_sel_hi:[1,0] neg_lo:[0,1] neg_hi:[0,1]
	v_pk_add_f16 v22, v13, v14 op_sel:[0,1] op_sel_hi:[1,0]
	v_pk_add_f16 v13, v5, v2
	v_add_co_u32 v17, s2, v39, 9
	s_waitcnt lgkmcnt(0)
	s_barrier
	buffer_gl0_inv
	ds_write2_b32 v44, v1, v11 offset1:1
	v_bfi_b32 v1, 0xffff, v4, v24
	v_pk_add_f16 v4, v5, v2 neg_lo:[0,1] neg_hi:[0,1]
	v_pk_add_f16 v19, v12, v5
	v_pk_add_f16 v20, v3, v6
	v_pk_fma_f16 v11, v13, 0.5, v12 op_sel_hi:[1,0,1] neg_lo:[1,0,0] neg_hi:[1,0,0]
	v_pk_add_f16 v12, v6, v7
	v_pk_add_f16 v6, v6, v7 neg_lo:[0,1] neg_hi:[0,1]
	v_add_co_ci_u32_e64 v15, null, 0, 0, s2
	v_add_co_u32 v15, s2, v39, 18
	v_mul_u32_u24_e32 v5, 3, v17
	v_pk_mul_f16 v4, 0x3aee, v4 op_sel_hi:[0,1]
	ds_write_b32 v44, v1 offset:8
	v_pk_fma_f16 v1, v12, 0.5, v3 op_sel_hi:[1,0,1] neg_lo:[1,0,0] neg_hi:[1,0,0]
	v_pk_mul_f16 v3, 0x3aee, v6 op_sel_hi:[0,1]
	v_add_co_ci_u32_e64 v16, null, 0, 0, s2
	v_add_co_u32 v16, null, v39, 27
	v_lshl_add_u32 v45, v5, 2, v43
	v_pk_add_f16 v5, v11, v4 op_sel:[0,1] op_sel_hi:[1,0]
	v_pk_add_f16 v4, v11, v4 op_sel:[0,1] op_sel_hi:[1,0] neg_lo:[0,1] neg_hi:[0,1]
	v_mul_u32_u24_e32 v6, 3, v15
	v_pk_add_f16 v11, v1, v3 op_sel:[0,1] op_sel_hi:[1,0]
	v_pk_add_f16 v1, v1, v3 op_sel:[0,1] op_sel_hi:[1,0] neg_lo:[0,1] neg_hi:[0,1]
	v_pk_add_f16 v2, v19, v2
	v_bfi_b32 v3, 0xffff, v5, v4
	v_lshl_add_u32 v47, v6, 2, v43
	v_mul_u32_u24_e32 v46, 3, v16
	v_bfi_b32 v4, 0xffff, v4, v5
	v_pk_add_f16 v5, v20, v7
	v_bfi_b32 v6, 0xffff, v11, v1
	v_bfi_b32 v1, 0xffff, v1, v11
	ds_write2_b32 v45, v2, v3 offset1:1
	ds_write_b32 v45, v4 offset:8
	ds_write2_b32 v47, v5, v6 offset1:1
	ds_write_b32 v47, v1 offset:8
	s_and_saveexec_b32 s2, vcc_lo
	s_cbranch_execz .LBB0_7
; %bb.6:
	v_lshl_add_u32 v1, v46, 2, v43
	v_bfi_b32 v2, 0xffff, v21, v22
	v_bfi_b32 v3, 0xffff, v22, v21
	ds_write_b32 v1, v0
	ds_write2_b32 v1, v3, v2 offset0:1 offset1:2
.LBB0_7:
	s_or_b32 exec_lo, exec_lo, s2
	s_waitcnt lgkmcnt(0)
	s_barrier
	buffer_gl0_inv
	ds_read2_b32 v[4:5], v31 offset1:9
	ds_read2_b32 v[2:3], v31 offset0:18 offset1:30
	ds_read2_b32 v[6:7], v31 offset0:60 offset1:69
	;; [unrolled: 1-line block ×3, first 2 shown]
	ds_read_b32 v23, v31 offset:312
	v_lshrrev_b32_e32 v24, 16, v21
	s_and_saveexec_b32 s2, vcc_lo
	s_cbranch_execz .LBB0_9
; %bb.8:
	ds_read2_b32 v[0:1], v31 offset0:27 offset1:57
	ds_read_b32 v21, v31 offset:348
	s_waitcnt lgkmcnt(1)
	v_lshrrev_b32_e32 v24, 16, v1
	s_waitcnt lgkmcnt(0)
	v_bfi_b32 v22, 0xffff, v1, v21
.LBB0_9:
	s_or_b32 exec_lo, exec_lo, s2
	v_and_b32_e32 v1, 0xff, v39
	v_and_b32_e32 v11, 0xff, v17
	;; [unrolled: 1-line block ×4, first 2 shown]
	v_mov_b32_e32 v48, 9
	v_mul_lo_u16 v1, 0xab, v1
	v_mul_lo_u16 v11, 0xab, v11
	;; [unrolled: 1-line block ×3, first 2 shown]
	s_waitcnt lgkmcnt(3)
	v_lshrrev_b32_e32 v53, 16, v3
	s_waitcnt lgkmcnt(2)
	v_lshrrev_b32_e32 v54, 16, v6
	v_lshrrev_b16 v1, 9, v1
	v_lshrrev_b16 v25, 9, v11
	s_waitcnt lgkmcnt(1)
	v_lshrrev_b32_e32 v56, 16, v19
	v_lshrrev_b32_e32 v57, 16, v7
	;; [unrolled: 1-line block ×3, first 2 shown]
	v_mul_lo_u16 v11, v1, 3
	v_mul_lo_u16 v14, v25, 3
	v_lshrrev_b32_e32 v60, 16, v22
	v_lshrrev_b32_e32 v52, 16, v4
	;; [unrolled: 1-line block ×3, first 2 shown]
	v_sub_nc_u16 v26, v39, v11
	v_lshrrev_b16 v11, 9, v12
	v_mul_lo_u16 v12, 0xab, v13
	v_sub_nc_u16 v27, v17, v14
	v_mov_b32_e32 v14, 3
	v_lshlrev_b16 v13, 1, v26
	v_mul_lo_u16 v11, v11, 3
	v_lshrrev_b16 v28, 9, v12
	v_lshlrev_b16 v12, 1, v27
	v_mad_u16 v1, v1, 9, v26
	v_and_b32_e32 v13, 0xfe, v13
	v_sub_nc_u16 v29, v16, v11
	v_mul_lo_u16 v11, v28, 3
	v_and_b32_e32 v12, 0xfe, v12
	v_mul_u32_u24_sdwa v28, v28, v48 dst_sel:DWORD dst_unused:UNUSED_PAD src0_sel:WORD_0 src1_sel:DWORD
	v_lshlrev_b32_e32 v13, 2, v13
	v_lshlrev_b16 v16, 1, v29
	v_sub_nc_u16 v30, v15, v11
	v_lshlrev_b32_e32 v11, 2, v12
	v_mad_u16 v25, v25, 9, v27
	global_load_dwordx2 v[17:18], v13, s[0:1]
	v_and_b32_e32 v12, 0xfe, v16
	v_add_nc_u32_sdwa v26, v28, v30 dst_sel:DWORD dst_unused:UNUSED_PAD src0_sel:DWORD src1_sel:BYTE_0
	global_load_dwordx2 v[15:16], v11, s[0:1]
	v_lshlrev_b32_sdwa v13, v14, v30 dst_sel:DWORD dst_unused:UNUSED_PAD src0_sel:DWORD src1_sel:BYTE_0
	v_and_b32_e32 v28, 0xff, v1
	v_lshlrev_b32_e32 v11, 2, v12
	s_waitcnt lgkmcnt(0)
	v_lshrrev_b32_e32 v27, 16, v23
	v_and_b32_e32 v25, 0xff, v25
	s_clause 0x1
	global_load_dwordx2 v[13:14], v13, s[0:1]
	global_load_dwordx2 v[11:12], v11, s[0:1]
	v_and_b32_e32 v48, 0xff, v29
	v_lshl_add_u32 v51, v28, 2, v43
	v_lshl_add_u32 v49, v26, 2, v43
	;; [unrolled: 1-line block ×3, first 2 shown]
	v_lshrrev_b32_e32 v58, 16, v2
	v_lshrrev_b32_e32 v1, 16, v0
	s_waitcnt vmcnt(0)
	s_barrier
	buffer_gl0_inv
	v_mul_f16_sdwa v28, v53, v17 dst_sel:DWORD dst_unused:UNUSED_PAD src0_sel:DWORD src1_sel:WORD_1
	v_mul_f16_sdwa v29, v3, v17 dst_sel:DWORD dst_unused:UNUSED_PAD src0_sel:DWORD src1_sel:WORD_1
	;; [unrolled: 1-line block ×8, first 2 shown]
	v_fma_f16 v28, v3, v17, -v28
	v_mul_f16_sdwa v66, v59, v13 dst_sel:DWORD dst_unused:UNUSED_PAD src0_sel:DWORD src1_sel:WORD_1
	v_mul_f16_sdwa v67, v20, v13 dst_sel:DWORD dst_unused:UNUSED_PAD src0_sel:DWORD src1_sel:WORD_1
	;; [unrolled: 1-line block ×8, first 2 shown]
	v_fmac_f16_e32 v29, v53, v17
	v_fma_f16 v30, v6, v18, -v30
	v_fmac_f16_e32 v61, v54, v18
	v_fma_f16 v19, v19, v15, -v62
	;; [unrolled: 2-line block ×7, first 2 shown]
	v_fmac_f16_e32 v25, v60, v12
	v_add_f16_e32 v22, v28, v30
	v_sub_f16_e32 v24, v29, v61
	v_add_f16_e32 v27, v52, v29
	v_add_f16_e32 v29, v29, v61
	;; [unrolled: 1-line block ×7, first 2 shown]
	v_sub_f16_e32 v28, v28, v30
	v_add_f16_e32 v53, v5, v19
	v_sub_f16_e32 v56, v63, v65
	v_add_f16_e32 v57, v55, v63
	;; [unrolled: 2-line block ×3, first 2 shown]
	v_add_f16_e32 v67, v3, v6
	v_add_f16_e32 v70, v26, v25
	v_fma_f16 v4, -0.5, v22, v4
	v_fmac_f16_e32 v52, -0.5, v29
	v_sub_f16_e32 v19, v19, v7
	v_fmac_f16_e32 v5, -0.5, v54
	v_fmac_f16_e32 v55, -0.5, v59
	v_add_f16_e32 v60, v2, v20
	v_sub_f16_e32 v20, v20, v23
	v_fmac_f16_e32 v2, -0.5, v62
	v_fmac_f16_e32 v58, -0.5, v66
	v_sub_f16_e32 v68, v26, v25
	v_sub_f16_e32 v71, v3, v6
	v_add_f16_e32 v30, v21, v30
	v_add_f16_e32 v22, v27, v61
	;; [unrolled: 1-line block ×4, first 2 shown]
	v_fma_f16 v53, -0.5, v67, v0
	v_fma_f16 v54, -0.5, v70, v1
	v_fmamk_f16 v57, v24, 0x3aee, v4
	v_fmac_f16_e32 v4, 0xbaee, v24
	v_fmamk_f16 v24, v28, 0xbaee, v52
	v_fmac_f16_e32 v52, 0x3aee, v28
	;; [unrolled: 2-line block ×4, first 2 shown]
	v_add_f16_e32 v23, v60, v23
	v_add_f16_e32 v29, v64, v69
	v_fmamk_f16 v19, v63, 0x3aee, v2
	v_fmamk_f16 v59, v20, 0xbaee, v58
	v_fmac_f16_e32 v2, 0xbaee, v63
	v_fmac_f16_e32 v58, 0x3aee, v20
	v_fmamk_f16 v20, v68, 0x3aee, v53
	v_fmac_f16_e32 v53, 0xbaee, v68
	v_fmamk_f16 v21, v71, 0xbaee, v54
	v_fmac_f16_e32 v54, 0x3aee, v71
	v_pack_b32_f16 v22, v30, v22
	v_pack_b32_f16 v24, v57, v24
	;; [unrolled: 1-line block ×9, first 2 shown]
	ds_write2_b32 v51, v22, v24 offset1:3
	ds_write_b32 v51, v4 offset:24
	ds_write2_b32 v50, v7, v27 offset1:3
	ds_write_b32 v50, v5 offset:24
	;; [unrolled: 2-line block ×3, first 2 shown]
	s_and_saveexec_b32 s2, vcc_lo
	s_cbranch_execz .LBB0_11
; %bb.10:
	v_add_f16_e32 v1, v1, v26
	v_add_f16_e32 v0, v0, v3
	v_lshl_add_u32 v2, v48, 2, v43
	v_perm_b32 v3, v21, v20, 0x5040100
	v_add_f16_e32 v1, v1, v25
	v_add_f16_e32 v0, v0, v6
	v_pack_b32_f16 v0, v0, v1
	v_perm_b32 v1, v54, v53, 0x5040100
	ds_write2_b32 v2, v0, v3 offset0:81 offset1:84
	ds_write_b32 v2, v1 offset:348
.LBB0_11:
	s_or_b32 exec_lo, exec_lo, s2
	v_mad_u64_u32 v[22:23], null, v39, 36, s[0:1]
	s_waitcnt lgkmcnt(0)
	s_barrier
	buffer_gl0_inv
	s_add_u32 s0, s12, 0x168
	s_addc_u32 s1, s13, 0
	s_clause 0x2
	global_load_dwordx4 v[4:7], v[22:23], off offset:24
	global_load_dwordx4 v[0:3], v[22:23], off offset:40
	global_load_dword v52, v[22:23], off offset:56
	ds_read2_b32 v[23:24], v31 offset1:9
	ds_read2_b32 v[25:26], v31 offset0:18 offset1:27
	ds_read2_b32 v[27:28], v31 offset0:36 offset1:45
	ds_read2_b32 v[29:30], v31 offset0:54 offset1:63
	ds_read2_b32 v[55:56], v31 offset0:72 offset1:81
	v_lshlrev_b32_e32 v22, 2, v39
	s_waitcnt lgkmcnt(4)
	v_lshrrev_b32_e32 v19, 16, v24
	s_waitcnt lgkmcnt(3)
	v_lshrrev_b32_e32 v58, 16, v25
	v_lshrrev_b32_e32 v59, 16, v26
	s_waitcnt lgkmcnt(2)
	v_lshrrev_b32_e32 v60, 16, v27
	;; [unrolled: 3-line block ×4, first 2 shown]
	v_lshrrev_b32_e32 v65, 16, v56
	v_lshrrev_b32_e32 v57, 16, v23
	s_waitcnt vmcnt(2)
	v_mul_f16_sdwa v66, v19, v4 dst_sel:DWORD dst_unused:UNUSED_PAD src0_sel:DWORD src1_sel:WORD_1
	v_mul_f16_sdwa v67, v24, v4 dst_sel:DWORD dst_unused:UNUSED_PAD src0_sel:DWORD src1_sel:WORD_1
	;; [unrolled: 1-line block ×8, first 2 shown]
	s_waitcnt vmcnt(1)
	v_mul_f16_sdwa v74, v61, v0 dst_sel:DWORD dst_unused:UNUSED_PAD src0_sel:DWORD src1_sel:WORD_1
	v_mul_f16_sdwa v75, v28, v0 dst_sel:DWORD dst_unused:UNUSED_PAD src0_sel:DWORD src1_sel:WORD_1
	;; [unrolled: 1-line block ×8, first 2 shown]
	s_waitcnt vmcnt(0)
	v_mul_f16_sdwa v82, v65, v52 dst_sel:DWORD dst_unused:UNUSED_PAD src0_sel:DWORD src1_sel:WORD_1
	v_mul_f16_sdwa v83, v56, v52 dst_sel:DWORD dst_unused:UNUSED_PAD src0_sel:DWORD src1_sel:WORD_1
	v_fma_f16 v24, v24, v4, -v66
	v_fmac_f16_e32 v67, v19, v4
	v_fma_f16 v19, v25, v5, -v68
	v_fmac_f16_e32 v69, v58, v5
	;; [unrolled: 2-line block ×9, first 2 shown]
	v_add_f16_e32 v56, v23, v19
	v_add_f16_e32 v58, v26, v28
	v_sub_f16_e32 v61, v19, v26
	v_sub_f16_e32 v62, v30, v28
	;; [unrolled: 1-line block ×4, first 2 shown]
	v_add_f16_e32 v66, v57, v69
	v_sub_f16_e32 v72, v69, v73
	v_sub_f16_e32 v74, v81, v77
	v_add_f16_e32 v80, v24, v25
	v_add_f16_e32 v82, v27, v29
	;; [unrolled: 1-line block ×6, first 2 shown]
	v_sub_f16_e32 v59, v69, v81
	v_sub_f16_e32 v60, v73, v77
	v_add_f16_e32 v63, v19, v30
	v_add_f16_e32 v68, v73, v77
	v_sub_f16_e32 v70, v26, v28
	v_add_f16_e32 v76, v69, v81
	v_sub_f16_e32 v69, v73, v69
	v_sub_f16_e32 v84, v71, v83
	;; [unrolled: 1-line block ×6, first 2 shown]
	v_add_f16_e32 v26, v56, v26
	v_fma_f16 v56, -0.5, v58, v23
	v_add_f16_e32 v58, v61, v62
	v_add_f16_e32 v61, v64, v65
	;; [unrolled: 1-line block ×5, first 2 shown]
	v_fma_f16 v66, -0.5, v82, v24
	v_add_f16_e32 v72, v91, v75
	v_fma_f16 v73, -0.5, v92, v67
	v_sub_f16_e32 v78, v77, v81
	v_sub_f16_e32 v85, v75, v79
	v_fmac_f16_e32 v24, -0.5, v88
	v_fmac_f16_e32 v67, -0.5, v96
	v_sub_f16_e32 v87, v55, v29
	v_sub_f16_e32 v90, v29, v55
	v_sub_f16_e32 v94, v71, v75
	v_sub_f16_e32 v95, v83, v79
	v_sub_f16_e32 v97, v79, v83
	v_fmac_f16_e32 v23, -0.5, v63
	v_fma_f16 v63, -0.5, v68, v57
	v_fmac_f16_e32 v57, -0.5, v76
	v_add_f16_e32 v27, v27, v29
	v_fmamk_f16 v29, v84, 0x3b9c, v66
	v_add_f16_e32 v72, v72, v79
	v_fmamk_f16 v79, v25, 0xbb9c, v73
	v_sub_f16_e32 v71, v75, v71
	v_add_f16_e32 v65, v69, v78
	v_fmamk_f16 v78, v85, 0xbb9c, v24
	v_fmac_f16_e32 v24, 0x3b9c, v85
	v_fmamk_f16 v80, v93, 0x3b9c, v67
	v_fmac_f16_e32 v67, 0xbb9c, v93
	v_sub_f16_e32 v19, v19, v30
	v_fmac_f16_e32 v66, 0xbb9c, v84
	v_fmac_f16_e32 v73, 0x3b9c, v25
	v_add_f16_e32 v68, v86, v87
	v_add_f16_e32 v74, v94, v95
	;; [unrolled: 1-line block ×4, first 2 shown]
	v_fmamk_f16 v77, v70, 0x3b9c, v57
	v_fmac_f16_e32 v57, 0xbb9c, v70
	v_fmac_f16_e32 v29, 0x38b4, v85
	;; [unrolled: 1-line block ×3, first 2 shown]
	v_add_f16_e32 v69, v89, v90
	v_add_f16_e32 v71, v71, v97
	v_fmamk_f16 v28, v59, 0x3b9c, v56
	v_fmac_f16_e32 v56, 0xbb9c, v59
	v_fmamk_f16 v75, v60, 0xbb9c, v23
	v_fmac_f16_e32 v23, 0x3b9c, v60
	v_fmac_f16_e32 v78, 0x38b4, v84
	;; [unrolled: 1-line block ×5, first 2 shown]
	v_fmamk_f16 v76, v19, 0xbb9c, v63
	v_fmac_f16_e32 v63, 0x3b9c, v19
	v_fmac_f16_e32 v66, 0xb8b4, v85
	;; [unrolled: 1-line block ×3, first 2 shown]
	v_add_f16_e32 v26, v26, v30
	v_add_f16_e32 v30, v62, v81
	v_fmac_f16_e32 v77, 0xb8b4, v19
	v_fmac_f16_e32 v57, 0x38b4, v19
	v_add_f16_e32 v19, v27, v55
	v_add_f16_e32 v27, v72, v83
	v_fmac_f16_e32 v29, 0x34f2, v68
	v_fmac_f16_e32 v79, 0x34f2, v74
	;; [unrolled: 1-line block ×14, first 2 shown]
	v_add_f16_e32 v25, v26, v19
	v_add_f16_e32 v55, v30, v27
	v_sub_f16_e32 v19, v26, v19
	v_sub_f16_e32 v26, v30, v27
	v_mul_f16_e32 v27, 0x38b4, v79
	v_mul_f16_e32 v60, 0xb8b4, v29
	v_fmac_f16_e32 v28, 0x34f2, v58
	v_fmac_f16_e32 v56, 0x34f2, v58
	;; [unrolled: 1-line block ×4, first 2 shown]
	v_mul_f16_e32 v30, 0x3b9c, v80
	v_mul_f16_e32 v58, 0x34f2, v24
	;; [unrolled: 1-line block ×4, first 2 shown]
	v_fmac_f16_e32 v76, 0x34f2, v64
	v_fmac_f16_e32 v63, 0x34f2, v64
	v_mul_f16_e32 v59, 0x3a79, v66
	v_mul_f16_e32 v64, 0x3a79, v73
	v_fmac_f16_e32 v27, 0x3a79, v29
	v_fmac_f16_e32 v60, 0x3a79, v79
	;; [unrolled: 1-line block ×4, first 2 shown]
	v_pack_b32_f16 v26, v19, v26
	v_fmac_f16_e32 v30, 0x34f2, v78
	v_fma_f16 v19, v67, 0x3b9c, -v58
	v_fmac_f16_e32 v61, 0x34f2, v80
	v_fma_f16 v24, v24, 0xbb9c, -v62
	v_pack_b32_f16 v25, v25, v55
	v_fma_f16 v29, v73, 0x38b4, -v59
	v_fma_f16 v55, v66, 0xb8b4, -v64
	v_add_f16_e32 v58, v28, v27
	v_add_f16_e32 v65, v76, v60
	;; [unrolled: 1-line block ×8, first 2 shown]
	v_sub_f16_e32 v27, v28, v27
	v_sub_f16_e32 v28, v75, v30
	;; [unrolled: 1-line block ×8, first 2 shown]
	v_pack_b32_f16 v56, v58, v65
	v_pack_b32_f16 v57, v59, v66
	;; [unrolled: 1-line block ×8, first 2 shown]
	ds_write2_b32 v31, v25, v56 offset1:9
	ds_write2_b32 v31, v57, v58 offset0:18 offset1:27
	ds_write2_b32 v31, v59, v26 offset0:36 offset1:45
	;; [unrolled: 1-line block ×4, first 2 shown]
	s_waitcnt lgkmcnt(0)
	s_barrier
	buffer_gl0_inv
	s_clause 0x8
	global_load_dword v56, v[8:9], off offset:360
	global_load_dword v57, v22, s[0:1] offset:120
	global_load_dword v58, v22, s[0:1] offset:240
	;; [unrolled: 1-line block ×8, first 2 shown]
	ds_read2_b32 v[23:24], v31 offset1:9
	ds_read2_b32 v[25:26], v31 offset0:18 offset1:30
	ds_read2_b32 v[27:28], v31 offset0:60 offset1:69
	;; [unrolled: 1-line block ×3, first 2 shown]
	ds_read_b32 v65, v31 offset:312
	s_waitcnt lgkmcnt(4)
	v_lshrrev_b32_e32 v66, 16, v23
	v_lshrrev_b32_e32 v69, 16, v24
	s_waitcnt lgkmcnt(2)
	v_lshrrev_b32_e32 v68, 16, v27
	v_lshrrev_b32_e32 v71, 16, v28
	;; [unrolled: 1-line block ×4, first 2 shown]
	s_waitcnt lgkmcnt(1)
	v_lshrrev_b32_e32 v70, 16, v29
	v_lshrrev_b32_e32 v73, 16, v30
	s_waitcnt lgkmcnt(0)
	v_lshrrev_b32_e32 v74, 16, v65
	s_waitcnt vmcnt(8)
	v_mul_f16_sdwa v75, v66, v56 dst_sel:DWORD dst_unused:UNUSED_PAD src0_sel:DWORD src1_sel:WORD_1
	v_mul_f16_sdwa v76, v23, v56 dst_sel:DWORD dst_unused:UNUSED_PAD src0_sel:DWORD src1_sel:WORD_1
	s_waitcnt vmcnt(6)
	v_mul_f16_sdwa v79, v68, v58 dst_sel:DWORD dst_unused:UNUSED_PAD src0_sel:DWORD src1_sel:WORD_1
	s_waitcnt vmcnt(5)
	v_mul_f16_sdwa v81, v69, v59 dst_sel:DWORD dst_unused:UNUSED_PAD src0_sel:DWORD src1_sel:WORD_1
	v_mul_f16_sdwa v82, v24, v59 dst_sel:DWORD dst_unused:UNUSED_PAD src0_sel:DWORD src1_sel:WORD_1
	;; [unrolled: 1-line block ×3, first 2 shown]
	s_waitcnt vmcnt(3)
	v_mul_f16_sdwa v85, v71, v61 dst_sel:DWORD dst_unused:UNUSED_PAD src0_sel:DWORD src1_sel:WORD_1
	v_mul_f16_sdwa v86, v28, v61 dst_sel:DWORD dst_unused:UNUSED_PAD src0_sel:DWORD src1_sel:WORD_1
	;; [unrolled: 1-line block ×4, first 2 shown]
	s_waitcnt vmcnt(0)
	v_mul_f16_sdwa v87, v72, v64 dst_sel:DWORD dst_unused:UNUSED_PAD src0_sel:DWORD src1_sel:WORD_1
	v_mul_f16_sdwa v88, v25, v64 dst_sel:DWORD dst_unused:UNUSED_PAD src0_sel:DWORD src1_sel:WORD_1
	;; [unrolled: 1-line block ×8, first 2 shown]
	v_fma_f16 v23, v23, v56, -v75
	v_fmac_f16_e32 v76, v66, v56
	v_fma_f16 v24, v24, v59, -v81
	v_fmac_f16_e32 v82, v69, v59
	;; [unrolled: 2-line block ×9, first 2 shown]
	v_pack_b32_f16 v23, v23, v76
	v_pack_b32_f16 v24, v24, v82
	;; [unrolled: 1-line block ×9, first 2 shown]
	ds_write2_b32 v31, v23, v24 offset1:9
	ds_write2_b32 v31, v27, v28 offset0:60 offset1:69
	ds_write2_b32 v31, v25, v26 offset0:18 offset1:30
	;; [unrolled: 1-line block ×3, first 2 shown]
	ds_write_b32 v31, v56 offset:312
	s_and_saveexec_b32 s2, vcc_lo
	s_cbranch_execz .LBB0_13
; %bb.12:
	v_add_co_u32 v22, s0, s0, v22
	v_add_co_ci_u32_e64 v23, null, s1, 0, s0
	s_clause 0x2
	global_load_dword v24, v[22:23], off offset:108
	global_load_dword v25, v[22:23], off offset:228
	;; [unrolled: 1-line block ×3, first 2 shown]
	ds_read2_b32 v[22:23], v31 offset0:27 offset1:57
	ds_read_b32 v27, v31 offset:348
	s_waitcnt lgkmcnt(1)
	v_lshrrev_b32_e32 v28, 16, v22
	v_lshrrev_b32_e32 v29, 16, v23
	s_waitcnt lgkmcnt(0)
	v_lshrrev_b32_e32 v30, 16, v27
	s_waitcnt vmcnt(2)
	v_mul_f16_sdwa v56, v28, v24 dst_sel:DWORD dst_unused:UNUSED_PAD src0_sel:DWORD src1_sel:WORD_1
	v_mul_f16_sdwa v57, v22, v24 dst_sel:DWORD dst_unused:UNUSED_PAD src0_sel:DWORD src1_sel:WORD_1
	s_waitcnt vmcnt(1)
	v_mul_f16_sdwa v58, v29, v25 dst_sel:DWORD dst_unused:UNUSED_PAD src0_sel:DWORD src1_sel:WORD_1
	v_mul_f16_sdwa v59, v23, v25 dst_sel:DWORD dst_unused:UNUSED_PAD src0_sel:DWORD src1_sel:WORD_1
	;; [unrolled: 3-line block ×3, first 2 shown]
	v_fma_f16 v22, v22, v24, -v56
	v_fmac_f16_e32 v57, v28, v24
	v_fma_f16 v23, v23, v25, -v58
	v_fmac_f16_e32 v59, v29, v25
	;; [unrolled: 2-line block ×3, first 2 shown]
	v_pack_b32_f16 v22, v22, v57
	v_pack_b32_f16 v23, v23, v59
	;; [unrolled: 1-line block ×3, first 2 shown]
	ds_write2_b32 v31, v22, v23 offset0:27 offset1:57
	ds_write_b32 v31, v24 offset:348
.LBB0_13:
	s_or_b32 exec_lo, exec_lo, s2
	s_waitcnt lgkmcnt(0)
	s_barrier
	buffer_gl0_inv
	ds_read2_b32 v[27:28], v31 offset1:9
	ds_read2_b32 v[25:26], v31 offset0:18 offset1:30
	ds_read2_b32 v[23:24], v31 offset0:60 offset1:69
	;; [unrolled: 1-line block ×3, first 2 shown]
	ds_read_b32 v56, v31 offset:312
	s_and_saveexec_b32 s0, vcc_lo
	s_cbranch_execz .LBB0_15
; %bb.14:
	ds_read2_b32 v[19:20], v31 offset0:27 offset1:57
	ds_read_b32 v53, v31 offset:348
	s_waitcnt lgkmcnt(1)
	v_lshrrev_b32_e32 v55, 16, v19
	v_lshrrev_b32_e32 v21, 16, v20
	s_waitcnt lgkmcnt(0)
	v_lshrrev_b32_e32 v54, 16, v53
.LBB0_15:
	s_or_b32 exec_lo, exec_lo, s0
	v_add_f16_e32 v59, v19, v20
	s_waitcnt lgkmcnt(3)
	v_pk_add_f16 v57, v27, v26
	v_sub_f16_e32 v60, v21, v54
	v_add_f16_e32 v62, v55, v21
	v_add_f16_e32 v63, v21, v54
	;; [unrolled: 1-line block ×3, first 2 shown]
	s_waitcnt lgkmcnt(2)
	v_pk_add_f16 v59, v26, v23
	v_pk_add_f16 v26, v26, v23 neg_lo:[0,1] neg_hi:[0,1]
	v_add_f16_e32 v22, v20, v53
	s_waitcnt lgkmcnt(1)
	v_pk_add_f16 v58, v28, v29
	v_fmac_f16_e32 v55, -0.5, v63
	v_pk_fma_f16 v27, v59, 0.5, v27 op_sel_hi:[1,0,1] neg_lo:[1,0,0] neg_hi:[1,0,0]
	v_pk_mul_f16 v26, 0x3aee, v26 op_sel_hi:[0,1]
	v_sub_f16_e32 v63, v20, v53
	v_add_f16_e32 v20, v62, v54
	v_pk_add_f16 v61, v25, v30
	s_waitcnt lgkmcnt(0)
	v_pk_add_f16 v59, v30, v56
	v_pk_add_f16 v54, v27, v26 op_sel:[0,1] op_sel_hi:[1,0] neg_lo:[0,1] neg_hi:[0,1]
	v_pk_add_f16 v26, v27, v26 op_sel:[0,1] op_sel_hi:[1,0]
	v_pk_add_f16 v27, v29, v24
	v_pk_add_f16 v29, v29, v24 neg_lo:[0,1] neg_hi:[0,1]
	v_pk_add_f16 v30, v30, v56 neg_lo:[0,1] neg_hi:[0,1]
	v_pk_add_f16 v23, v57, v23
	v_bfi_b32 v57, 0xffff, v54, v26
	v_pk_fma_f16 v27, v27, 0.5, v28 op_sel_hi:[1,0,1] neg_lo:[1,0,0] neg_hi:[1,0,0]
	v_pk_mul_f16 v28, 0x3aee, v29 op_sel_hi:[0,1]
	v_pk_fma_f16 v25, v59, 0.5, v25 op_sel_hi:[1,0,1] neg_lo:[1,0,0] neg_hi:[1,0,0]
	v_pk_mul_f16 v29, 0x3aee, v30 op_sel_hi:[0,1]
	v_fmac_f16_e32 v19, -0.5, v22
	s_barrier
	buffer_gl0_inv
	ds_write2_b32 v44, v23, v57 offset1:1
	v_pk_add_f16 v23, v27, v28 op_sel:[0,1] op_sel_hi:[1,0] neg_lo:[0,1] neg_hi:[0,1]
	v_pk_add_f16 v27, v27, v28 op_sel:[0,1] op_sel_hi:[1,0]
	v_pk_add_f16 v28, v25, v29 op_sel:[0,1] op_sel_hi:[1,0] neg_lo:[0,1] neg_hi:[0,1]
	v_pk_add_f16 v25, v25, v29 op_sel:[0,1] op_sel_hi:[1,0]
	v_fmamk_f16 v22, v60, 0xbaee, v19
	v_fmac_f16_e32 v19, 0x3aee, v60
	v_fmamk_f16 v53, v63, 0x3aee, v55
	v_fmac_f16_e32 v55, 0xbaee, v63
	v_bfi_b32 v26, 0xffff, v26, v54
	v_pk_add_f16 v24, v58, v24
	v_bfi_b32 v29, 0xffff, v23, v27
	v_bfi_b32 v23, 0xffff, v27, v23
	v_pk_add_f16 v27, v61, v56
	v_bfi_b32 v30, 0xffff, v28, v25
	v_bfi_b32 v25, 0xffff, v25, v28
	ds_write_b32 v44, v26 offset:8
	ds_write2_b32 v45, v24, v29 offset1:1
	ds_write_b32 v45, v23 offset:8
	ds_write2_b32 v47, v27, v30 offset1:1
	ds_write_b32 v47, v25 offset:8
	s_and_saveexec_b32 s0, vcc_lo
	s_cbranch_execz .LBB0_17
; %bb.16:
	v_lshl_add_u32 v23, v46, 2, v43
	v_perm_b32 v24, v53, v22, 0x5040100
	v_perm_b32 v25, v20, v21, 0x5040100
	;; [unrolled: 1-line block ×3, first 2 shown]
	ds_write2_b32 v23, v25, v24 offset1:1
	ds_write_b32 v23, v26 offset:8
.LBB0_17:
	s_or_b32 exec_lo, exec_lo, s0
	s_waitcnt lgkmcnt(0)
	s_barrier
	buffer_gl0_inv
	ds_read2_b32 v[25:26], v31 offset1:9
	ds_read2_b32 v[23:24], v31 offset0:18 offset1:30
	ds_read2_b32 v[29:30], v31 offset0:60 offset1:69
	;; [unrolled: 1-line block ×3, first 2 shown]
	ds_read_b32 v44, v31 offset:312
	s_and_saveexec_b32 s0, vcc_lo
	s_cbranch_execz .LBB0_19
; %bb.18:
	ds_read2_b32 v[21:22], v31 offset0:27 offset1:57
	ds_read_b32 v19, v31 offset:348
	s_waitcnt lgkmcnt(1)
	v_lshrrev_b32_e32 v20, 16, v21
	v_lshrrev_b32_e32 v53, 16, v22
	s_waitcnt lgkmcnt(0)
	v_lshrrev_b32_e32 v55, 16, v19
.LBB0_19:
	s_or_b32 exec_lo, exec_lo, s0
	s_waitcnt lgkmcnt(3)
	v_lshrrev_b32_e32 v46, 16, v24
	s_waitcnt lgkmcnt(2)
	v_lshrrev_b32_e32 v47, 16, v29
	;; [unrolled: 2-line block ×3, first 2 shown]
	v_mul_f16_sdwa v61, v17, v24 dst_sel:DWORD dst_unused:UNUSED_PAD src0_sel:WORD_1 src1_sel:DWORD
	v_lshrrev_b32_e32 v57, 16, v30
	v_mul_f16_sdwa v59, v17, v46 dst_sel:DWORD dst_unused:UNUSED_PAD src0_sel:WORD_1 src1_sel:DWORD
	v_mul_f16_sdwa v63, v18, v47 dst_sel:DWORD dst_unused:UNUSED_PAD src0_sel:WORD_1 src1_sel:DWORD
	v_lshrrev_b32_e32 v60, 16, v28
	s_waitcnt lgkmcnt(0)
	v_lshrrev_b32_e32 v62, 16, v44
	v_lshrrev_b32_e32 v45, 16, v25
	v_fmac_f16_e32 v59, v17, v24
	v_mul_f16_sdwa v24, v18, v29 dst_sel:DWORD dst_unused:UNUSED_PAD src0_sel:WORD_1 src1_sel:DWORD
	v_fma_f16 v17, v17, v46, -v61
	v_mul_f16_sdwa v46, v15, v56 dst_sel:DWORD dst_unused:UNUSED_PAD src0_sel:WORD_1 src1_sel:DWORD
	v_fmac_f16_e32 v63, v18, v29
	v_mul_f16_sdwa v29, v15, v27 dst_sel:DWORD dst_unused:UNUSED_PAD src0_sel:WORD_1 src1_sel:DWORD
	v_fma_f16 v18, v18, v47, -v24
	v_mul_f16_sdwa v24, v16, v57 dst_sel:DWORD dst_unused:UNUSED_PAD src0_sel:WORD_1 src1_sel:DWORD
	v_fmac_f16_e32 v46, v15, v27
	v_mul_f16_sdwa v27, v16, v30 dst_sel:DWORD dst_unused:UNUSED_PAD src0_sel:WORD_1 src1_sel:DWORD
	v_fma_f16 v15, v15, v56, -v29
	v_mul_f16_sdwa v29, v13, v60 dst_sel:DWORD dst_unused:UNUSED_PAD src0_sel:WORD_1 src1_sel:DWORD
	v_fmac_f16_e32 v24, v16, v30
	v_mul_f16_sdwa v30, v13, v28 dst_sel:DWORD dst_unused:UNUSED_PAD src0_sel:WORD_1 src1_sel:DWORD
	v_fma_f16 v16, v16, v57, -v27
	v_mul_f16_sdwa v27, v14, v62 dst_sel:DWORD dst_unused:UNUSED_PAD src0_sel:WORD_1 src1_sel:DWORD
	v_fmac_f16_e32 v29, v13, v28
	v_mul_f16_sdwa v28, v14, v44 dst_sel:DWORD dst_unused:UNUSED_PAD src0_sel:WORD_1 src1_sel:DWORD
	v_fma_f16 v13, v13, v60, -v30
	v_add_f16_e32 v30, v59, v63
	v_fmac_f16_e32 v27, v14, v44
	v_add_f16_e32 v44, v25, v59
	v_fma_f16 v14, v14, v62, -v28
	v_add_f16_e32 v28, v17, v18
	v_fma_f16 v25, -0.5, v30, v25
	v_sub_f16_e32 v30, v17, v18
	v_add_f16_e32 v17, v45, v17
	v_lshrrev_b32_e32 v54, 16, v26
	v_fmac_f16_e32 v45, -0.5, v28
	v_sub_f16_e32 v28, v59, v63
	v_fmamk_f16 v47, v30, 0xbaee, v25
	v_add_f16_e32 v17, v17, v18
	v_add_f16_e32 v18, v46, v24
	v_fmac_f16_e32 v25, 0x3aee, v30
	v_fmamk_f16 v30, v28, 0x3aee, v45
	v_add_f16_e32 v56, v26, v46
	v_fmac_f16_e32 v45, 0xbaee, v28
	v_add_f16_e32 v28, v15, v16
	v_fmac_f16_e32 v26, -0.5, v18
	v_sub_f16_e32 v18, v15, v16
	v_add_f16_e32 v15, v54, v15
	v_add_f16_e32 v56, v56, v24
	v_fmac_f16_e32 v54, -0.5, v28
	v_sub_f16_e32 v24, v46, v24
	v_lshrrev_b32_e32 v58, 16, v23
	v_add_f16_e32 v15, v15, v16
	v_add_f16_e32 v16, v29, v27
	v_fmamk_f16 v28, v18, 0xbaee, v26
	v_fmac_f16_e32 v26, 0x3aee, v18
	v_fmamk_f16 v18, v24, 0x3aee, v54
	v_fmac_f16_e32 v54, 0xbaee, v24
	v_add_f16_e32 v24, v13, v14
	v_add_f16_e32 v44, v44, v63
	;; [unrolled: 1-line block ×3, first 2 shown]
	v_fmac_f16_e32 v23, -0.5, v16
	v_sub_f16_e32 v16, v13, v14
	v_add_f16_e32 v13, v58, v13
	v_fmac_f16_e32 v58, -0.5, v24
	v_sub_f16_e32 v24, v29, v27
	v_add_f16_e32 v27, v46, v27
	v_fmamk_f16 v29, v16, 0xbaee, v23
	v_fmac_f16_e32 v23, 0x3aee, v16
	v_pack_b32_f16 v16, v44, v17
	v_pack_b32_f16 v17, v47, v30
	v_add_f16_e32 v13, v13, v14
	v_fmamk_f16 v14, v24, 0x3aee, v58
	v_fmac_f16_e32 v58, 0xbaee, v24
	s_barrier
	buffer_gl0_inv
	ds_write2_b32 v51, v16, v17 offset1:3
	v_pack_b32_f16 v16, v25, v45
	v_pack_b32_f16 v15, v56, v15
	;; [unrolled: 1-line block ×7, first 2 shown]
	ds_write_b32 v51, v16 offset:24
	ds_write2_b32 v50, v15, v17 offset1:3
	ds_write_b32 v50, v18 offset:24
	ds_write2_b32 v49, v13, v14 offset1:3
	ds_write_b32 v49, v23 offset:24
	s_and_saveexec_b32 s0, vcc_lo
	s_cbranch_execz .LBB0_21
; %bb.20:
	v_mul_f16_sdwa v13, v11, v22 dst_sel:DWORD dst_unused:UNUSED_PAD src0_sel:WORD_1 src1_sel:DWORD
	v_mul_f16_sdwa v14, v12, v19 dst_sel:DWORD dst_unused:UNUSED_PAD src0_sel:WORD_1 src1_sel:DWORD
	;; [unrolled: 1-line block ×4, first 2 shown]
	v_fma_f16 v13, v11, v53, -v13
	v_fma_f16 v14, v12, v55, -v14
	v_fmac_f16_e32 v15, v11, v22
	v_fmac_f16_e32 v16, v12, v19
	v_add_f16_e32 v18, v20, v13
	v_add_f16_e32 v11, v13, v14
	v_sub_f16_e32 v13, v13, v14
	v_add_f16_e32 v17, v15, v16
	v_sub_f16_e32 v12, v15, v16
	v_add_f16_e32 v15, v21, v15
	v_fma_f16 v11, -0.5, v11, v20
	v_add_f16_e32 v14, v18, v14
	v_fma_f16 v17, -0.5, v17, v21
	v_add_f16_e32 v15, v15, v16
	v_fmamk_f16 v16, v12, 0xbaee, v11
	v_fmac_f16_e32 v11, 0x3aee, v12
	v_fmamk_f16 v12, v13, 0x3aee, v17
	v_fmac_f16_e32 v17, 0xbaee, v13
	v_lshl_add_u32 v13, v48, 2, v43
	v_pack_b32_f16 v14, v15, v14
	v_pack_b32_f16 v12, v12, v16
	;; [unrolled: 1-line block ×3, first 2 shown]
	ds_write2_b32 v13, v14, v11 offset0:81 offset1:84
	ds_write_b32 v13, v12 offset:348
.LBB0_21:
	s_or_b32 exec_lo, exec_lo, s0
	s_waitcnt lgkmcnt(0)
	s_barrier
	buffer_gl0_inv
	ds_read2_b32 v[11:12], v31 offset1:9
	ds_read2_b32 v[13:14], v31 offset0:18 offset1:27
	ds_read2_b32 v[15:16], v31 offset0:36 offset1:45
	;; [unrolled: 1-line block ×4, first 2 shown]
	s_mov_b32 s4, 0x16c16c17
	s_mov_b32 s5, 0x3f86c16c
	s_waitcnt lgkmcnt(4)
	v_lshrrev_b32_e32 v22, 16, v12
	s_waitcnt lgkmcnt(3)
	v_lshrrev_b32_e32 v23, 16, v13
	v_lshrrev_b32_e32 v24, 16, v14
	s_waitcnt lgkmcnt(2)
	v_lshrrev_b32_e32 v25, 16, v15
	v_mul_f16_sdwa v43, v4, v12 dst_sel:DWORD dst_unused:UNUSED_PAD src0_sel:WORD_1 src1_sel:DWORD
	v_mul_f16_sdwa v44, v5, v13 dst_sel:DWORD dst_unused:UNUSED_PAD src0_sel:WORD_1 src1_sel:DWORD
	v_lshrrev_b32_e32 v26, 16, v16
	s_waitcnt lgkmcnt(1)
	v_lshrrev_b32_e32 v27, 16, v17
	v_mul_f16_sdwa v45, v6, v14 dst_sel:DWORD dst_unused:UNUSED_PAD src0_sel:WORD_1 src1_sel:DWORD
	v_mul_f16_sdwa v46, v7, v15 dst_sel:DWORD dst_unused:UNUSED_PAD src0_sel:WORD_1 src1_sel:DWORD
	;; [unrolled: 1-line block ×3, first 2 shown]
	v_fma_f16 v22, v4, v22, -v43
	v_mul_f16_sdwa v43, v5, v23 dst_sel:DWORD dst_unused:UNUSED_PAD src0_sel:WORD_1 src1_sel:DWORD
	v_mul_f16_sdwa v48, v6, v24 dst_sel:DWORD dst_unused:UNUSED_PAD src0_sel:WORD_1 src1_sel:DWORD
	v_fma_f16 v23, v5, v23, -v44
	v_mul_f16_sdwa v44, v7, v25 dst_sel:DWORD dst_unused:UNUSED_PAD src0_sel:WORD_1 src1_sel:DWORD
	s_waitcnt lgkmcnt(0)
	v_lshrrev_b32_e32 v29, 16, v19
	v_fmac_f16_e32 v47, v4, v12
	v_fmac_f16_e32 v43, v5, v13
	v_fmac_f16_e32 v48, v6, v14
	v_fma_f16 v4, v6, v24, -v45
	v_mul_f16_sdwa v5, v0, v26 dst_sel:DWORD dst_unused:UNUSED_PAD src0_sel:WORD_1 src1_sel:DWORD
	v_fmac_f16_e32 v44, v7, v15
	v_fma_f16 v6, v7, v25, -v46
	v_mul_f16_sdwa v7, v0, v16 dst_sel:DWORD dst_unused:UNUSED_PAD src0_sel:WORD_1 src1_sel:DWORD
	v_mul_f16_sdwa v12, v1, v27 dst_sel:DWORD dst_unused:UNUSED_PAD src0_sel:WORD_1 src1_sel:DWORD
	v_lshrrev_b32_e32 v28, 16, v18
	v_fmac_f16_e32 v5, v0, v16
	v_mul_f16_sdwa v16, v3, v29 dst_sel:DWORD dst_unused:UNUSED_PAD src0_sel:WORD_1 src1_sel:DWORD
	v_fma_f16 v0, v0, v26, -v7
	v_fmac_f16_e32 v12, v1, v17
	v_mul_f16_sdwa v7, v3, v19 dst_sel:DWORD dst_unused:UNUSED_PAD src0_sel:WORD_1 src1_sel:DWORD
	v_mul_f16_sdwa v13, v1, v17 dst_sel:DWORD dst_unused:UNUSED_PAD src0_sel:WORD_1 src1_sel:DWORD
	;; [unrolled: 1-line block ×3, first 2 shown]
	v_fmac_f16_e32 v16, v3, v19
	v_add_f16_e32 v15, v44, v12
	v_fma_f16 v7, v3, v29, -v7
	v_lshrrev_b32_e32 v21, 16, v11
	v_fma_f16 v1, v1, v27, -v13
	v_fmac_f16_e32 v14, v2, v18
	v_mul_f16_sdwa v13, v2, v18 dst_sel:DWORD dst_unused:UNUSED_PAD src0_sel:WORD_1 src1_sel:DWORD
	v_add_f16_e32 v18, v11, v43
	v_fma_f16 v15, -0.5, v15, v11
	v_sub_f16_e32 v24, v23, v7
	v_add_f16_e32 v26, v43, v16
	v_fma_f16 v2, v2, v28, -v13
	v_add_f16_e32 v3, v18, v44
	v_sub_f16_e32 v18, v6, v1
	v_fmamk_f16 v13, v24, 0xbb9c, v15
	v_sub_f16_e32 v19, v43, v44
	v_sub_f16_e32 v25, v16, v12
	v_fmac_f16_e32 v11, -0.5, v26
	v_fmac_f16_e32 v15, 0x3b9c, v24
	v_add_f16_e32 v28, v21, v23
	v_fmac_f16_e32 v13, 0xb8b4, v18
	v_add_f16_e32 v19, v19, v25
	v_fmamk_f16 v25, v18, 0x3b9c, v11
	v_fmac_f16_e32 v15, 0x38b4, v18
	v_fmac_f16_e32 v11, 0xbb9c, v18
	v_add_f16_e32 v18, v28, v6
	v_lshrrev_b32_e32 v30, 16, v20
	v_add_f16_e32 v3, v3, v12
	v_sub_f16_e32 v26, v44, v43
	v_sub_f16_e32 v27, v12, v16
	v_add_f16_e32 v29, v6, v1
	v_fmac_f16_e32 v25, 0xb8b4, v24
	v_fmac_f16_e32 v11, 0x38b4, v24
	v_add_f16_e32 v18, v18, v1
	v_add_f16_e32 v24, v23, v7
	v_mul_f16_sdwa v17, v52, v30 dst_sel:DWORD dst_unused:UNUSED_PAD src0_sel:WORD_1 src1_sel:DWORD
	v_add_f16_e32 v3, v3, v16
	v_add_f16_e32 v26, v26, v27
	v_fma_f16 v27, -0.5, v29, v21
	v_sub_f16_e32 v16, v43, v16
	v_sub_f16_e32 v12, v44, v12
	;; [unrolled: 1-line block ×4, first 2 shown]
	v_fmac_f16_e32 v21, -0.5, v24
	v_add_f16_e32 v18, v18, v7
	v_sub_f16_e32 v6, v6, v23
	v_sub_f16_e32 v1, v1, v7
	v_add_f16_e32 v7, v47, v48
	v_fmac_f16_e32 v17, v52, v20
	v_mul_f16_sdwa v20, v52, v20 dst_sel:DWORD dst_unused:UNUSED_PAD src0_sel:WORD_1 src1_sel:DWORD
	v_fmac_f16_e32 v13, 0x34f2, v19
	v_fmac_f16_e32 v15, 0x34f2, v19
	;; [unrolled: 1-line block ×3, first 2 shown]
	v_fmamk_f16 v19, v16, 0x3b9c, v27
	v_fmac_f16_e32 v11, 0x34f2, v26
	v_fmac_f16_e32 v27, 0xbb9c, v16
	v_fmamk_f16 v26, v12, 0xbb9c, v21
	v_add_f16_e32 v1, v6, v1
	v_fmac_f16_e32 v21, 0x3b9c, v12
	v_add_f16_e32 v6, v7, v5
	v_fma_f16 v20, v52, v30, -v20
	v_add_f16_e32 v7, v5, v14
	v_fmac_f16_e32 v19, 0x38b4, v12
	v_fmac_f16_e32 v27, 0xb8b4, v12
	;; [unrolled: 1-line block ×4, first 2 shown]
	v_add_f16_e32 v6, v6, v14
	v_add_f16_e32 v12, v48, v17
	v_fma_f16 v7, -0.5, v7, v47
	v_sub_f16_e32 v16, v4, v20
	v_add_f16_e32 v24, v28, v29
	v_fmac_f16_e32 v26, 0x34f2, v1
	v_fmac_f16_e32 v21, 0x34f2, v1
	v_add_f16_e32 v1, v6, v17
	v_sub_f16_e32 v6, v0, v2
	v_fmac_f16_e32 v47, -0.5, v12
	v_fmamk_f16 v12, v16, 0xbb9c, v7
	v_fmac_f16_e32 v7, 0x3b9c, v16
	v_fmac_f16_e32 v19, 0x34f2, v24
	;; [unrolled: 1-line block ×3, first 2 shown]
	v_sub_f16_e32 v23, v48, v5
	v_sub_f16_e32 v24, v17, v14
	v_fmamk_f16 v28, v6, 0x3b9c, v47
	v_fmac_f16_e32 v47, 0xbb9c, v6
	v_sub_f16_e32 v29, v5, v48
	v_sub_f16_e32 v30, v14, v17
	v_fmac_f16_e32 v12, 0xb8b4, v6
	v_fmac_f16_e32 v7, 0x38b4, v6
	v_add_f16_e32 v6, v0, v2
	v_add_f16_e32 v23, v23, v24
	v_fmac_f16_e32 v28, 0xb8b4, v16
	v_fmac_f16_e32 v47, 0x38b4, v16
	v_add_f16_e32 v16, v4, v20
	v_add_f16_e32 v24, v29, v30
	v_fma_f16 v6, -0.5, v6, v22
	v_sub_f16_e32 v17, v48, v17
	v_fmac_f16_e32 v12, 0x34f2, v23
	v_fmac_f16_e32 v7, 0x34f2, v23
	v_add_f16_e32 v23, v22, v4
	v_sub_f16_e32 v5, v5, v14
	v_fmac_f16_e32 v22, -0.5, v16
	v_fmac_f16_e32 v28, 0x34f2, v24
	v_fmac_f16_e32 v47, 0x34f2, v24
	v_fmamk_f16 v14, v17, 0x3b9c, v6
	v_sub_f16_e32 v16, v4, v0
	v_sub_f16_e32 v24, v20, v2
	v_fmamk_f16 v29, v5, 0xbb9c, v22
	v_sub_f16_e32 v4, v0, v4
	v_sub_f16_e32 v30, v2, v20
	v_fmac_f16_e32 v22, 0x3b9c, v5
	v_fmac_f16_e32 v6, 0xbb9c, v17
	;; [unrolled: 1-line block ×3, first 2 shown]
	v_add_f16_e32 v16, v16, v24
	v_fmac_f16_e32 v29, 0x38b4, v17
	v_add_f16_e32 v4, v4, v30
	v_fmac_f16_e32 v22, 0xb8b4, v17
	v_fmac_f16_e32 v6, 0xb8b4, v5
	v_add_f16_e32 v0, v23, v0
	v_fmac_f16_e32 v14, 0x34f2, v16
	v_fmac_f16_e32 v29, 0x34f2, v4
	;; [unrolled: 1-line block ×4, first 2 shown]
	v_add_f16_e32 v0, v0, v2
	v_mul_f16_e32 v2, 0xb8b4, v14
	v_mul_f16_e32 v14, 0x3a79, v14
	v_mul_f16_e32 v4, 0xbb9c, v29
	v_mul_f16_e32 v5, 0xbb9c, v22
	v_mul_f16_e32 v29, 0x34f2, v29
	v_mul_f16_e32 v22, 0xb4f2, v22
	v_mul_f16_e32 v16, 0xb8b4, v6
	v_mul_f16_e32 v6, 0xba79, v6
	v_add_f16_e32 v0, v0, v20
	v_fmac_f16_e32 v2, 0x3a79, v12
	v_fmac_f16_e32 v14, 0x38b4, v12
	;; [unrolled: 1-line block ×8, first 2 shown]
	v_add_f16_e32 v17, v3, v1
	v_add_f16_e32 v20, v13, v2
	;; [unrolled: 1-line block ×10, first 2 shown]
	v_sub_f16_e32 v1, v3, v1
	v_sub_f16_e32 v0, v18, v0
	;; [unrolled: 1-line block ×10, first 2 shown]
	v_pack_b32_f16 v7, v17, v7
	v_pack_b32_f16 v12, v20, v12
	;; [unrolled: 1-line block ×10, first 2 shown]
	ds_write2_b32 v31, v7, v12 offset1:9
	ds_write2_b32 v31, v15, v16 offset0:18 offset1:27
	ds_write2_b32 v31, v17, v0 offset0:36 offset1:45
	;; [unrolled: 1-line block ×4, first 2 shown]
	s_waitcnt lgkmcnt(0)
	s_barrier
	buffer_gl0_inv
	ds_read2_b32 v[2:3], v31 offset1:9
	s_waitcnt lgkmcnt(0)
	v_lshrrev_b32_e32 v4, 16, v2
	v_mul_f16_sdwa v0, v42, v4 dst_sel:DWORD dst_unused:UNUSED_PAD src0_sel:WORD_1 src1_sel:DWORD
	v_fmac_f16_e32 v0, v42, v2
	v_mul_f16_sdwa v2, v42, v2 dst_sel:DWORD dst_unused:UNUSED_PAD src0_sel:WORD_1 src1_sel:DWORD
	v_cvt_f32_f16_e32 v0, v0
	v_fma_f16 v2, v42, v4, -v2
	v_cvt_f64_f32_e32 v[0:1], v0
	v_cvt_f32_f16_e32 v2, v2
	v_cvt_f64_f32_e32 v[4:5], v2
	v_mul_f64 v[6:7], v[0:1], s[4:5]
	ds_read2_b32 v[0:1], v31 offset0:18 offset1:30
	v_mul_f64 v[4:5], v[4:5], s[4:5]
	s_waitcnt lgkmcnt(0)
	v_lshrrev_b32_e32 v16, 16, v1
	v_and_or_b32 v2, 0x1ff, v7, v6
	v_lshrrev_b32_e32 v6, 8, v7
	v_bfe_u32 v13, v7, 20, 11
	v_lshrrev_b32_e32 v7, 16, v7
	v_mul_f16_sdwa v11, v41, v16 dst_sel:DWORD dst_unused:UNUSED_PAD src0_sel:WORD_1 src1_sel:DWORD
	v_cmp_ne_u32_e64 s0, 0, v2
	v_and_or_b32 v4, 0x1ff, v5, v4
	v_lshrrev_b32_e32 v12, 8, v5
	v_bfe_u32 v15, v5, 20, 11
	v_fmac_f16_e32 v11, v41, v1
	v_cndmask_b32_e64 v2, 0, 1, s0
	v_cmp_ne_u32_e64 s0, 0, v4
	v_add_nc_u32_e32 v20, 0xfffffc10, v13
	v_mul_f16_sdwa v1, v41, v1 dst_sel:DWORD dst_unused:UNUSED_PAD src0_sel:WORD_1 src1_sel:DWORD
	v_cvt_f32_f16_e32 v11, v11
	v_and_or_b32 v6, 0xffe, v6, v2
	v_sub_nc_u32_e32 v2, 0x3f1, v13
	v_cndmask_b32_e64 v4, 0, 1, s0
	v_fma_f16 v1, v41, v16, -v1
	v_cmp_gt_i32_e64 s2, 31, v20
	v_or_b32_e32 v14, 0x1000, v6
	v_med3_i32 v2, v2, 0, 13
	v_and_or_b32 v4, 0xffe, v12, v4
	v_sub_nc_u32_e32 v12, 0x3f1, v15
	v_cvt_f32_f16_e32 v1, v1
	v_lshrrev_b32_e32 v17, v2, v14
	v_or_b32_e32 v18, 0x1000, v4
	v_med3_i32 v19, v12, 0, 13
	v_cvt_f64_f32_e32 v[11:12], v11
	v_lshlrev_b32_e32 v2, v2, v17
	v_lshrrev_b32_e32 v21, v19, v18
	v_cmp_ne_u32_e64 s0, v2, v14
	v_mad_u64_u32 v[13:14], null, s10, v10, 0
	v_lshlrev_b32_e32 v19, v19, v21
	v_cndmask_b32_e64 v2, 0, 1, s0
	v_cmp_gt_i32_e64 s0, 1, v20
	v_or_b32_e32 v2, v17, v2
	v_lshl_or_b32 v17, v20, 12, v6
	v_cndmask_b32_e64 v17, v17, v2, s0
	v_cmp_ne_u32_e64 s0, v19, v18
	v_mov_b32_e32 v2, v14
	v_add_nc_u32_e32 v19, 0xfffffc10, v15
	v_and_b32_e32 v22, 7, v17
	v_cndmask_b32_e64 v18, 0, 1, s0
	v_mad_u64_u32 v[14:15], null, s11, v10, v[2:3]
	v_lshl_or_b32 v15, v19, 12, v4
	v_cmp_gt_i32_e64 s1, 1, v19
	v_or_b32_e32 v2, v21, v18
	v_mul_f64 v[10:11], v[11:12], s[4:5]
	v_cmp_lt_i32_e64 s0, 5, v22
	v_lshrrev_b32_e32 v12, 2, v17
	v_mad_u64_u32 v[17:18], null, s8, v39, 0
	v_cndmask_b32_e64 v2, v15, v2, s1
	v_cmp_eq_u32_e64 s1, 3, v22
	v_and_b32_e32 v15, 7, v2
	s_or_b32 s0, s1, s0
	v_add_co_ci_u32_e64 v12, s0, 0, v12, s0
	v_cmp_ne_u32_e64 s0, 0, v6
	v_cmp_eq_u32_e64 s1, 3, v15
	v_cndmask_b32_e64 v12, 0x7c00, v12, s2
	v_cndmask_b32_e64 v6, 0, 1, s0
	v_cmp_lt_i32_e64 s0, 5, v15
	v_cvt_f64_f32_e32 v[15:16], v1
	v_lshrrev_b32_e32 v1, 2, v2
	v_and_or_b32 v2, 0x1ff, v11, v10
	v_lshrrev_b32_e32 v10, 8, v11
	s_or_b32 s0, s1, s0
	v_bfe_u32 v21, v11, 20, 11
	v_add_co_ci_u32_e64 v1, s0, 0, v1, s0
	v_cmp_ne_u32_e64 s0, 0, v2
	v_lshl_or_b32 v6, v6, 9, 0x7c00
	v_sub_nc_u32_e32 v23, 0x3f1, v21
	v_add_nc_u32_e32 v21, 0xfffffc10, v21
	v_cndmask_b32_e64 v2, 0, 1, s0
	v_cmp_gt_i32_e64 s0, 31, v19
	v_med3_i32 v23, v23, 0, 13
	v_and_or_b32 v10, 0xffe, v10, v2
	v_cndmask_b32_e64 v22, 0x7c00, v1, s0
	v_cmp_ne_u32_e64 s0, 0, v4
	ds_read2_b32 v[1:2], v31 offset0:60 offset1:69
	v_mul_f64 v[15:16], v[15:16], s[4:5]
	v_or_b32_e32 v24, 0x1000, v10
	v_cndmask_b32_e64 v4, 0, 1, s0
	v_cmp_eq_u32_e64 s0, 0x40f, v20
	v_lshl_or_b32 v4, v4, 9, 0x7c00
	v_cndmask_b32_e64 v6, v12, v6, s0
	v_cmp_eq_u32_e64 s0, 0x40f, v19
	v_lshrrev_b32_e32 v12, v23, v24
	v_and_or_b32 v6, 0x8000, v7, v6
	v_cndmask_b32_e64 v19, v22, v4, s0
	v_mov_b32_e32 v4, v18
	v_lshlrev_b32_e32 v7, v23, v12
	v_lshrrev_b32_e32 v18, 16, v5
	s_waitcnt lgkmcnt(0)
	v_lshrrev_b32_e32 v22, 16, v1
	v_and_b32_e32 v6, 0xffff, v6
	v_mad_u64_u32 v[4:5], null, s9, v39, v[4:5]
	v_cmp_ne_u32_e64 s0, v7, v24
	v_and_or_b32 v15, 0x1ff, v16, v15
	v_and_or_b32 v5, 0x8000, v18, v19
	v_lshrrev_b32_e32 v19, 8, v16
	v_bfe_u32 v23, v16, 20, 11
	v_cndmask_b32_e64 v7, 0, 1, s0
	v_mov_b32_e32 v18, v4
	v_mul_f16_sdwa v4, v40, v22 dst_sel:DWORD dst_unused:UNUSED_PAD src0_sel:WORD_1 src1_sel:DWORD
	v_cmp_ne_u32_e64 s0, 0, v15
	v_lshl_or_b32 v25, v5, 16, v6
	v_or_b32_e32 v7, v12, v7
	v_lshl_or_b32 v12, v21, 12, v10
	v_fmac_f16_e32 v4, v40, v1
	v_cndmask_b32_e64 v15, 0, 1, s0
	v_cmp_gt_i32_e64 s0, 1, v21
	v_mul_f16_sdwa v1, v40, v1 dst_sel:DWORD dst_unused:UNUSED_PAD src0_sel:WORD_1 src1_sel:DWORD
	v_lshlrev_b64 v[5:6], 2, v[13:14]
	v_cvt_f32_f16_e32 v4, v4
	v_and_or_b32 v24, 0xffe, v19, v15
	v_cndmask_b32_e64 v7, v12, v7, s0
	v_sub_nc_u32_e32 v12, 0x3f1, v23
	v_fma_f16 v1, v40, v22, -v1
	v_cvt_f64_f32_e32 v[19:20], v4
	v_or_b32_e32 v4, 0x1000, v24
	v_and_b32_e32 v15, 7, v7
	v_med3_i32 v12, v12, 0, 13
	v_lshrrev_b32_e32 v7, 2, v7
	v_cvt_f32_f16_e32 v1, v1
	v_lshlrev_b64 v[17:18], 2, v[17:18]
	v_cmp_lt_i32_e64 s0, 5, v15
	v_lshrrev_b32_e32 v26, v12, v4
	v_cmp_eq_u32_e64 s1, 3, v15
	v_cvt_f64_f32_e32 v[14:15], v1
	v_add_co_u32 v5, s2, s6, v5
	v_lshlrev_b32_e32 v12, v12, v26
	s_or_b32 s0, s1, s0
	v_add_co_ci_u32_e64 v6, s2, s7, v6, s2
	v_add_co_ci_u32_e64 v7, s0, 0, v7, s0
	v_cmp_ne_u32_e64 s0, v12, v4
	v_mul_f64 v[12:13], v[19:20], s[4:5]
	v_add_nc_u32_e32 v19, 0xfffffc10, v23
	v_cndmask_b32_e64 v4, 0, 1, s0
	v_cmp_ne_u32_e64 s0, 0, v10
	v_lshl_or_b32 v10, v19, 12, v24
	v_or_b32_e32 v4, v26, v4
	v_cndmask_b32_e64 v1, 0, 1, s0
	v_cmp_gt_i32_e64 s0, 31, v21
	v_mul_f64 v[14:15], v[14:15], s[4:5]
	v_lshl_or_b32 v1, v1, 9, 0x7c00
	v_cndmask_b32_e64 v7, 0x7c00, v7, s0
	v_cmp_gt_i32_e64 s0, 1, v19
	v_cndmask_b32_e64 v4, v10, v4, s0
	v_cmp_eq_u32_e64 s0, 0x40f, v21
	v_and_b32_e32 v20, 7, v4
	v_cndmask_b32_e64 v1, v7, v1, s0
	v_lshrrev_b32_e32 v7, 16, v11
	v_add_co_u32 v10, s0, v5, v17
	v_add_co_ci_u32_e64 v11, s0, v6, v18, s0
	v_and_or_b32 v1, 0x8000, v7, v1
	v_and_or_b32 v7, 0x1ff, v13, v12
	v_cmp_lt_i32_e64 s0, 5, v20
	v_cmp_eq_u32_e64 s1, 3, v20
	v_lshrrev_b32_e32 v4, 2, v4
	v_lshrrev_b32_e32 v12, 8, v13
	v_cmp_ne_u32_e64 s2, 0, v7
	v_bfe_u32 v18, v13, 20, 11
	s_or_b32 s0, s1, s0
	v_and_or_b32 v14, 0x1ff, v15, v14
	v_add_co_ci_u32_e64 v4, s0, 0, v4, s0
	v_cndmask_b32_e64 v7, 0, 1, s2
	v_sub_nc_u32_e32 v17, 0x3f1, v18
	v_cmp_ne_u32_e64 s0, 0, v24
	v_bfe_u32 v24, v15, 20, 11
	v_add_nc_u32_e32 v18, 0xfffffc10, v18
	v_and_or_b32 v7, 0xffe, v12, v7
	v_lshrrev_b32_e32 v12, 16, v3
	v_cndmask_b32_e64 v20, 0, 1, s0
	v_med3_i32 v17, v17, 0, 13
	v_cmp_gt_i32_e64 s0, 31, v19
	v_or_b32_e32 v21, 0x1000, v7
	v_mul_f16_sdwa v22, v38, v12 dst_sel:DWORD dst_unused:UNUSED_PAD src0_sel:WORD_1 src1_sel:DWORD
	v_lshl_or_b32 v20, v20, 9, 0x7c00
	s_mul_i32 s1, s9, 30
	v_cndmask_b32_e64 v4, 0x7c00, v4, s0
	v_lshrrev_b32_e32 v23, v17, v21
	v_fmac_f16_e32 v22, v38, v3
	v_cmp_eq_u32_e64 s0, 0x40f, v19
	s_mul_hi_u32 s2, s8, 30
	v_and_b32_e32 v1, 0xffff, v1
	s_add_i32 s3, s2, s1
	v_cvt_f32_f16_e32 v19, v22
	v_cndmask_b32_e64 v4, v4, v20, s0
	v_lshlrev_b32_e32 v22, v17, v23
	v_cmp_ne_u32_e64 s0, 0, v14
	v_lshrrev_b32_e32 v20, 16, v16
	v_cvt_f64_f32_e32 v[16:17], v19
	v_lshrrev_b32_e32 v19, 8, v15
	v_mul_f16_sdwa v3, v38, v3 dst_sel:DWORD dst_unused:UNUSED_PAD src0_sel:WORD_1 src1_sel:DWORD
	v_cndmask_b32_e64 v14, 0, 1, s0
	v_cmp_ne_u32_e64 s0, v22, v21
	v_lshl_or_b32 v22, v18, 12, v7
	v_and_or_b32 v4, 0x8000, v20, v4
	v_fma_f16 v3, v38, v12, -v3
	v_and_or_b32 v14, 0xffe, v19, v14
	v_cndmask_b32_e64 v21, 0, 1, s0
	v_sub_nc_u32_e32 v19, 0x3f1, v24
	v_cmp_gt_i32_e64 s0, 1, v18
	v_lshl_or_b32 v1, v4, 16, v1
	v_cvt_f32_f16_e32 v3, v3
	v_or_b32_e32 v21, v23, v21
	v_or_b32_e32 v23, 0x1000, v14
	v_med3_i32 v19, v19, 0, 13
	v_add_nc_u32_e32 v12, 0xfffffc10, v24
	v_lshrrev_b32_e32 v13, 16, v13
	v_cndmask_b32_e64 v21, v22, v21, s0
	s_mul_i32 s2, s8, 30
	v_lshrrev_b32_e32 v20, v19, v23
	v_mul_f64 v[16:17], v[16:17], s[4:5]
	s_lshl_b64 s[12:13], s[2:3], 2
	v_and_b32_e32 v22, 7, v21
	v_lshlrev_b32_e32 v19, v19, v20
	v_cmp_lt_i32_e64 s0, 5, v22
	v_cmp_ne_u32_e64 s1, v19, v23
	v_lshrrev_b32_e32 v19, 2, v21
	v_lshl_or_b32 v21, v12, 12, v14
	v_cndmask_b32_e64 v4, 0, 1, s1
	v_cmp_eq_u32_e64 s1, 3, v22
	v_or_b32_e32 v20, v20, v4
	s_or_b32 s0, s1, s0
	v_cvt_f64_f32_e32 v[3:4], v3
	v_add_co_ci_u32_e64 v19, s0, 0, v19, s0
	v_cmp_ne_u32_e64 s0, 0, v7
	v_and_or_b32 v16, 0x1ff, v17, v16
	v_lshrrev_b32_e32 v22, 8, v17
	v_bfe_u32 v23, v17, 20, 11
	v_cndmask_b32_e64 v7, 0, 1, s0
	v_cmp_gt_i32_e64 s0, 1, v12
	v_lshl_or_b32 v7, v7, 9, 0x7c00
	v_cndmask_b32_e64 v20, v21, v20, s0
	v_cmp_gt_i32_e64 s0, 31, v18
	v_and_b32_e32 v21, 7, v20
	v_cndmask_b32_e64 v19, 0x7c00, v19, s0
	v_cmp_ne_u32_e64 s0, 0, v16
	v_lshrrev_b32_e32 v20, 2, v20
	v_cmp_eq_u32_e64 s1, 3, v21
	v_cndmask_b32_e64 v16, 0, 1, s0
	v_cmp_eq_u32_e64 s0, 0x40f, v18
	v_and_or_b32 v16, 0xffe, v22, v16
	v_cndmask_b32_e64 v7, v19, v7, s0
	v_cmp_lt_i32_e64 s0, 5, v21
	v_mul_f64 v[18:19], v[3:4], s[4:5]
	v_sub_nc_u32_e32 v21, 0x3f1, v23
	ds_read2_b32 v[3:4], v31 offset0:39 offset1:48
	v_or_b32_e32 v22, 0x1000, v16
	s_or_b32 s0, s1, s0
	v_and_or_b32 v7, 0x8000, v13, v7
	v_add_co_ci_u32_e64 v20, s0, 0, v20, s0
	v_med3_i32 v21, v21, 0, 13
	v_cmp_ne_u32_e64 s0, 0, v14
	v_and_b32_e32 v7, 0xffff, v7
	v_lshrrev_b32_e32 v24, v21, v22
	v_cndmask_b32_e64 v14, 0, 1, s0
	v_cmp_gt_i32_e64 s0, 31, v12
	v_lshlrev_b32_e32 v13, v21, v24
	v_lshl_or_b32 v14, v14, 9, 0x7c00
	v_cndmask_b32_e64 v20, 0x7c00, v20, s0
	v_cmp_eq_u32_e64 s0, 0x40f, v12
	v_and_or_b32 v12, 0x1ff, v19, v18
	s_waitcnt lgkmcnt(0)
	v_lshrrev_b32_e32 v26, 16, v3
	v_lshrrev_b32_e32 v21, 16, v15
	;; [unrolled: 1-line block ×3, first 2 shown]
	v_cndmask_b32_e64 v20, v20, v14, s0
	v_cmp_ne_u32_e64 s0, v13, v22
	v_mul_f16_sdwa v14, v37, v26 dst_sel:DWORD dst_unused:UNUSED_PAD src0_sel:WORD_1 src1_sel:DWORD
	v_bfe_u32 v22, v19, 20, 11
	v_add_nc_u32_e32 v18, 0xfffffc10, v23
	v_and_or_b32 v20, 0x8000, v21, v20
	v_cndmask_b32_e64 v13, 0, 1, s0
	v_cmp_ne_u32_e64 s0, 0, v12
	v_fmac_f16_e32 v14, v37, v3
	v_lshl_or_b32 v23, v18, 12, v16
	v_lshl_or_b32 v7, v20, 16, v7
	v_or_b32_e32 v13, v24, v13
	v_cndmask_b32_e64 v12, 0, 1, s0
	v_cvt_f32_f16_e32 v14, v14
	v_cmp_gt_i32_e64 s0, 1, v18
	v_add_nc_u32_e32 v20, 0xfffffc10, v22
	v_mul_f16_sdwa v3, v37, v3 dst_sel:DWORD dst_unused:UNUSED_PAD src0_sel:WORD_1 src1_sel:DWORD
	v_and_or_b32 v24, 0xffe, v15, v12
	v_sub_nc_u32_e32 v12, 0x3f1, v22
	v_cndmask_b32_e64 v23, v23, v13, s0
	v_fma_f16 v3, v37, v26, -v3
	v_or_b32_e32 v27, 0x1000, v24
	v_med3_i32 v28, v12, 0, 13
	v_cvt_f64_f32_e32 v[12:13], v14
	v_add_co_u32 v14, s0, v10, s12
	v_add_co_ci_u32_e64 v15, s0, s13, v11, s0
	v_lshrrev_b32_e32 v21, v28, v27
	v_and_b32_e32 v29, 7, v23
	global_store_dword v[10:11], v25, off
	global_store_dword v[14:15], v1, off
	v_lshrrev_b32_e32 v10, 2, v23
	v_cvt_f32_f16_e32 v3, v3
	v_lshlrev_b32_e32 v1, v28, v21
	v_cmp_lt_i32_e64 s0, 5, v29
	v_cmp_eq_u32_e64 s1, 3, v29
	v_mul_f16_sdwa v23, v36, v2 dst_sel:DWORD dst_unused:UNUSED_PAD src0_sel:WORD_1 src1_sel:DWORD
	v_cmp_ne_u32_e64 s2, v1, v27
	s_or_b32 s0, s1, s0
	v_add_co_ci_u32_e64 v22, s0, 0, v10, s0
	v_cndmask_b32_e64 v1, 0, 1, s2
	v_cmp_ne_u32_e64 s0, 0, v16
	v_mul_f64 v[10:11], v[12:13], s[4:5]
	s_mul_i32 s2, s8, 0xffffffcd
	v_or_b32_e32 v1, v21, v1
	v_lshl_or_b32 v21, v20, 12, v24
	v_cndmask_b32_e64 v12, 0, 1, s0
	v_cmp_gt_i32_e64 s0, 1, v20
	v_cndmask_b32_e64 v1, v21, v1, s0
	v_cmp_gt_i32_e64 s0, 31, v18
	v_lshl_or_b32 v21, v12, 9, 0x7c00
	v_cvt_f64_f32_e32 v[12:13], v3
	v_cndmask_b32_e64 v16, 0x7c00, v22, s0
	v_add_co_u32 v14, s0, v14, s12
	v_add_co_ci_u32_e64 v15, s0, s13, v15, s0
	v_and_b32_e32 v22, 7, v1
	v_cmp_eq_u32_e64 s0, 0x40f, v18
	v_lshrrev_b32_e32 v1, 2, v1
	global_store_dword v[14:15], v7, off
	v_and_or_b32 v7, 0x1ff, v11, v10
	v_cmp_eq_u32_e64 s1, 3, v22
	v_cndmask_b32_e64 v3, v16, v21, s0
	v_cmp_lt_i32_e64 s0, 5, v22
	v_lshrrev_b32_e32 v16, 16, v17
	v_lshrrev_b32_e32 v10, 8, v11
	v_bfe_u32 v18, v11, 20, 11
	v_lshrrev_b32_e32 v21, 16, v2
	s_or_b32 s0, s1, s0
	v_and_or_b32 v3, 0x8000, v16, v3
	v_add_co_ci_u32_e64 v1, s0, 0, v1, s0
	v_cmp_ne_u32_e64 s0, 0, v7
	v_mul_f64 v[12:13], v[12:13], s[4:5]
	v_mul_f16_sdwa v17, v36, v21 dst_sel:DWORD dst_unused:UNUSED_PAD src0_sel:WORD_1 src1_sel:DWORD
	s_mul_i32 s1, s9, 0xffffffcd
	v_and_b32_e32 v3, 0xffff, v3
	v_cndmask_b32_e64 v7, 0, 1, s0
	v_cmp_ne_u32_e64 s0, 0, v24
	v_fmac_f16_e32 v17, v36, v2
	v_lshrrev_b32_e32 v11, 16, v11
	v_and_or_b32 v7, 0xffe, v10, v7
	v_cndmask_b32_e64 v16, 0, 1, s0
	v_sub_nc_u32_e32 v10, 0x3f1, v18
	v_cmp_gt_i32_e64 s0, 31, v20
	v_cvt_f32_f16_e32 v17, v17
	v_or_b32_e32 v22, 0x1000, v7
	v_lshl_or_b32 v16, v16, 9, 0x7c00
	v_med3_i32 v10, v10, 0, 13
	v_cndmask_b32_e64 v1, 0x7c00, v1, s0
	v_cmp_eq_u32_e64 s0, 0x40f, v20
	v_add_nc_u32_e32 v18, 0xfffffc10, v18
	v_and_or_b32 v12, 0x1ff, v13, v12
	v_cndmask_b32_e64 v1, v1, v16, s0
	v_lshrrev_b32_e32 v16, 16, v19
	v_lshrrev_b32_e32 v19, v10, v22
	s_mul_hi_u32 s0, s8, 0xffffffcd
	v_lshrrev_b32_e32 v20, 8, v13
	s_sub_i32 s0, s0, s8
	v_and_or_b32 v1, 0x8000, v16, v1
	v_lshlrev_b32_e32 v10, v10, v19
	s_add_i32 s3, s0, s1
	v_cvt_f64_f32_e32 v[16:17], v17
	s_lshl_b64 s[6:7], s[2:3], 2
	v_lshl_or_b32 v3, v1, 16, v3
	v_cmp_ne_u32_e64 s0, v10, v22
	v_bfe_u32 v22, v13, 20, 11
	v_lshrrev_b32_e32 v13, 16, v13
	v_cndmask_b32_e64 v10, 0, 1, s0
	v_cmp_ne_u32_e64 s0, 0, v12
	v_or_b32_e32 v10, v19, v10
	v_cndmask_b32_e64 v12, 0, 1, s0
	v_lshl_or_b32 v19, v18, 12, v7
	v_cmp_gt_i32_e64 s0, 1, v18
	v_and_or_b32 v12, 0xffe, v20, v12
	v_sub_nc_u32_e32 v20, 0x3f1, v22
	v_cndmask_b32_e64 v10, v19, v10, s0
	v_mul_f64 v[1:2], v[16:17], s[4:5]
	v_add_co_u32 v14, s0, v14, s6
	v_or_b32_e32 v19, 0x1000, v12
	v_med3_i32 v20, v20, 0, 13
	v_and_b32_e32 v24, 7, v10
	v_add_co_ci_u32_e64 v15, s0, s7, v15, s0
	v_fma_f16 v16, v36, v21, -v23
	v_lshrrev_b32_e32 v25, v20, v19
	v_cmp_lt_i32_e64 s0, 5, v24
	v_cmp_eq_u32_e64 s1, 3, v24
	v_lshrrev_b32_e32 v10, 2, v10
	v_cvt_f32_f16_e32 v16, v16
	v_lshlrev_b32_e32 v17, v20, v25
	v_add_nc_u32_e32 v20, 0xfffffc10, v22
	s_or_b32 s0, s1, s0
	v_lshrrev_b32_e32 v22, 16, v0
	v_add_co_ci_u32_e64 v10, s0, 0, v10, s0
	v_cmp_ne_u32_e64 s2, v17, v19
	v_cmp_ne_u32_e64 s0, 0, v7
	v_cvt_f64_f32_e32 v[16:17], v16
	v_lshl_or_b32 v21, v20, 12, v12
	v_and_or_b32 v1, 0x1ff, v2, v1
	v_cndmask_b32_e64 v19, 0, 1, s2
	v_cndmask_b32_e64 v7, 0, 1, s0
	v_cmp_gt_i32_e64 s0, 31, v18
	v_mul_f16_sdwa v23, v35, v22 dst_sel:DWORD dst_unused:UNUSED_PAD src0_sel:WORD_1 src1_sel:DWORD
	global_store_dword v[14:15], v3, off
	v_or_b32_e32 v19, v25, v19
	v_lshl_or_b32 v7, v7, 9, 0x7c00
	v_cndmask_b32_e64 v10, 0x7c00, v10, s0
	v_cmp_gt_i32_e64 s0, 1, v20
	v_fmac_f16_e32 v23, v35, v0
	v_mul_f16_sdwa v0, v35, v0 dst_sel:DWORD dst_unused:UNUSED_PAD src0_sel:WORD_1 src1_sel:DWORD
	v_cndmask_b32_e64 v19, v21, v19, s0
	v_cmp_ne_u32_e64 s0, 0, v1
	v_lshrrev_b32_e32 v21, 8, v2
	v_fma_f16 v0, v35, v22, -v0
	v_cndmask_b32_e64 v1, 0, 1, s0
	v_cmp_eq_u32_e64 s0, 0x40f, v18
	v_bfe_u32 v18, v2, 20, 11
	v_mul_f64 v[16:17], v[16:17], s[4:5]
	v_cvt_f32_f16_e32 v0, v0
	v_and_or_b32 v21, 0xffe, v21, v1
	v_cndmask_b32_e64 v7, v10, v7, s0
	v_and_b32_e32 v10, 7, v19
	v_sub_nc_u32_e32 v1, 0x3f1, v18
	v_add_nc_u32_e32 v18, 0xfffffc10, v18
	v_or_b32_e32 v24, 0x1000, v21
	v_and_or_b32 v7, 0x8000, v11, v7
	v_cmp_lt_i32_e64 s0, 5, v10
	v_cmp_eq_u32_e64 s1, 3, v10
	v_lshrrev_b32_e32 v10, 2, v19
	v_med3_i32 v1, v1, 0, 13
	v_cvt_f32_f16_e32 v11, v23
	v_and_b32_e32 v7, 0xffff, v7
	s_or_b32 s0, s1, s0
	v_lshrrev_b32_e32 v2, 16, v2
	v_add_co_ci_u32_e64 v23, s0, 0, v10, s0
	v_lshrrev_b32_e32 v19, v1, v24
	v_cmp_ne_u32_e64 s0, 0, v12
	v_cvt_f64_f32_e32 v[10:11], v11
	v_and_or_b32 v16, 0x1ff, v17, v16
	v_bfe_u32 v25, v17, 20, 11
	v_lshlrev_b32_e32 v1, v1, v19
	v_cndmask_b32_e64 v12, 0, 1, s0
	v_cmp_gt_i32_e64 s0, 31, v20
	v_lshl_or_b32 v12, v12, 9, 0x7c00
	v_cndmask_b32_e64 v23, 0x7c00, v23, s0
	v_cmp_ne_u32_e64 s0, v1, v24
	v_lshrrev_b32_e32 v24, 8, v17
	v_lshrrev_b32_e32 v17, 16, v17
	v_cndmask_b32_e64 v1, 0, 1, s0
	v_cmp_ne_u32_e64 s0, 0, v16
	v_or_b32_e32 v1, v19, v1
	v_cndmask_b32_e64 v16, 0, 1, s0
	v_cmp_eq_u32_e64 s0, 0x40f, v20
	v_lshl_or_b32 v19, v18, 12, v21
	v_sub_nc_u32_e32 v20, 0x3f1, v25
	v_mul_f64 v[10:11], v[10:11], s[4:5]
	v_and_or_b32 v16, 0xffe, v24, v16
	v_cndmask_b32_e64 v12, v23, v12, s0
	v_cmp_gt_i32_e64 s0, 1, v18
	v_med3_i32 v20, v20, 0, 13
	v_and_or_b32 v12, 0x8000, v13, v12
	v_cndmask_b32_e64 v1, v19, v1, s0
	v_or_b32_e32 v19, 0x1000, v16
	v_lshl_or_b32 v7, v12, 16, v7
	v_and_b32_e32 v23, 7, v1
	v_lshrrev_b32_e32 v13, v20, v19
	v_lshrrev_b32_e32 v12, 2, v1
	v_cvt_f64_f32_e32 v[0:1], v0
	v_cmp_lt_i32_e64 s0, 5, v23
	v_lshlrev_b32_e32 v3, v20, v13
	v_cmp_eq_u32_e64 s1, 3, v23
	v_and_or_b32 v10, 0x1ff, v11, v10
	v_cmp_ne_u32_e64 s2, v3, v19
	s_or_b32 s0, s1, s0
	v_add_nc_u32_e32 v19, 0xfffffc10, v25
	v_add_co_ci_u32_e64 v12, s0, 0, v12, s0
	v_cndmask_b32_e64 v3, 0, 1, s2
	v_cmp_ne_u32_e64 s0, 0, v21
	v_bfe_u32 v21, v11, 20, 11
	v_or_b32_e32 v3, v13, v3
	v_lshl_or_b32 v13, v19, 12, v16
	v_cndmask_b32_e64 v20, 0, 1, s0
	v_cmp_gt_i32_e64 s0, 1, v19
	v_mul_f64 v[0:1], v[0:1], s[4:5]
	v_lshl_or_b32 v20, v20, 9, 0x7c00
	v_cndmask_b32_e64 v3, v13, v3, s0
	v_cmp_ne_u32_e64 s0, 0, v10
	v_lshrrev_b32_e32 v13, 8, v11
	v_lshrrev_b32_e32 v11, 16, v11
	v_and_b32_e32 v22, 7, v3
	v_cndmask_b32_e64 v10, 0, 1, s0
	v_cmp_gt_i32_e64 s0, 31, v18
	v_cmp_eq_u32_e64 s1, 3, v22
	v_and_or_b32 v10, 0xffe, v13, v10
	v_cndmask_b32_e64 v12, 0x7c00, v12, s0
	v_cmp_eq_u32_e64 s0, 0x40f, v18
	v_sub_nc_u32_e32 v13, 0x3f1, v21
	v_or_b32_e32 v18, 0x1000, v10
	v_cndmask_b32_e64 v12, v12, v20, s0
	v_cmp_lt_i32_e64 s0, 5, v22
	v_med3_i32 v13, v13, 0, 13
	v_lshrrev_b32_e32 v22, 16, v4
	v_and_or_b32 v0, 0x1ff, v1, v0
	v_and_or_b32 v20, 0x8000, v2, v12
	v_lshrrev_b32_e32 v2, 2, v3
	s_or_b32 s0, s1, s0
	v_lshrrev_b32_e32 v12, v13, v18
	v_mul_f16_sdwa v3, v34, v22 dst_sel:DWORD dst_unused:UNUSED_PAD src0_sel:WORD_1 src1_sel:DWORD
	v_bfe_u32 v24, v1, 20, 11
	v_add_co_ci_u32_e64 v2, s0, 0, v2, s0
	v_cmp_ne_u32_e64 s0, 0, v16
	v_lshlrev_b32_e32 v13, v13, v12
	v_fmac_f16_e32 v3, v34, v4
	v_mul_f16_sdwa v4, v34, v4 dst_sel:DWORD dst_unused:UNUSED_PAD src0_sel:WORD_1 src1_sel:DWORD
	v_cndmask_b32_e64 v16, 0, 1, s0
	v_cmp_gt_i32_e64 s0, 31, v19
	v_fma_f16 v4, v34, v22, -v4
	v_lshl_or_b32 v16, v16, 9, 0x7c00
	v_cndmask_b32_e64 v23, 0x7c00, v2, s0
	v_cmp_ne_u32_e64 s0, v13, v18
	v_cvt_f32_f16_e32 v2, v3
	v_add_nc_u32_e32 v18, 0xfffffc10, v21
	v_lshrrev_b32_e32 v21, 8, v1
	v_cvt_f32_f16_e32 v4, v4
	v_cndmask_b32_e64 v13, 0, 1, s0
	v_cmp_ne_u32_e64 s0, 0, v0
	v_cvt_f64_f32_e32 v[2:3], v2
	v_cmp_eq_u32_e64 s2, 0x40f, v18
	v_or_b32_e32 v12, v12, v13
	v_cndmask_b32_e64 v0, 0, 1, s0
	v_cmp_eq_u32_e64 s0, 0x40f, v19
	v_sub_nc_u32_e32 v19, 0x3f1, v24
	v_lshl_or_b32 v13, v18, 12, v10
	v_and_or_b32 v0, 0xffe, v21, v0
	v_cndmask_b32_e64 v16, v23, v16, s0
	v_cmp_gt_i32_e64 s0, 1, v18
	v_med3_i32 v19, v19, 0, 13
	v_or_b32_e32 v23, 0x1000, v0
	v_cndmask_b32_e64 v21, v13, v12, s0
	v_add_co_u32 v12, s0, v14, s12
	v_add_co_ci_u32_e64 v13, s0, s13, v15, s0
	v_lshrrev_b32_e32 v15, v19, v23
	v_and_or_b32 v14, 0x8000, v17, v16
	v_and_b32_e32 v16, 0xffff, v20
	v_and_b32_e32 v17, 7, v21
	v_mul_f64 v[2:3], v[2:3], s[4:5]
	v_lshlrev_b32_e32 v19, v19, v15
	global_store_dword v[12:13], v7, off
	v_lshl_or_b32 v7, v14, 16, v16
	v_cmp_lt_i32_e64 s0, 5, v17
	v_add_nc_u32_e32 v16, 0xfffffc10, v24
	v_cmp_ne_u32_e64 s1, v19, v23
	v_lshl_or_b32 v20, v16, 12, v0
	v_cndmask_b32_e64 v14, 0, 1, s1
	v_cmp_eq_u32_e64 s1, 3, v17
	v_lshrrev_b32_e32 v17, 2, v21
	v_or_b32_e32 v19, v15, v14
	s_or_b32 s0, s1, s0
	v_cvt_f64_f32_e32 v[14:15], v4
	v_add_co_ci_u32_e64 v4, s0, 0, v17, s0
	v_cmp_ne_u32_e64 s0, 0, v10
	v_and_or_b32 v2, 0x1ff, v3, v2
	v_bfe_u32 v21, v3, 20, 11
	v_cndmask_b32_e64 v10, 0, 1, s0
	v_cmp_gt_i32_e64 s0, 1, v16
	v_lshl_or_b32 v10, v10, 9, 0x7c00
	v_cndmask_b32_e64 v17, v20, v19, s0
	v_cmp_gt_i32_e64 s0, 31, v18
	v_lshrrev_b32_e32 v20, 8, v3
	v_and_b32_e32 v19, 7, v17
	v_cndmask_b32_e64 v4, 0x7c00, v4, s0
	v_cmp_ne_u32_e64 s0, 0, v2
	v_mul_f64 v[14:15], v[14:15], s[4:5]
	v_cmp_eq_u32_e64 s1, 3, v19
	v_cndmask_b32_e64 v4, v4, v10, s2
	v_cndmask_b32_e64 v2, 0, 1, s0
	v_cmp_lt_i32_e64 s0, 5, v19
	ds_read_b32 v19, v31 offset:312
	v_lshrrev_b32_e32 v10, 2, v17
	v_and_or_b32 v4, 0x8000, v11, v4
	v_and_or_b32 v20, 0xffe, v20, v2
	v_sub_nc_u32_e32 v2, 0x3f1, v21
	s_or_b32 s0, s1, s0
	v_add_co_ci_u32_e64 v10, s0, 0, v10, s0
	v_or_b32_e32 v17, 0x1000, v20
	v_med3_i32 v2, v2, 0, 13
	v_cmp_ne_u32_e64 s0, 0, v0
	v_and_b32_e32 v4, 0xffff, v4
	v_lshrrev_b32_e32 v18, v2, v17
	v_cndmask_b32_e64 v0, 0, 1, s0
	v_cmp_gt_i32_e64 s0, 31, v16
	s_waitcnt lgkmcnt(0)
	v_lshrrev_b32_e32 v11, 16, v19
	v_lshl_or_b32 v0, v0, 9, 0x7c00
	v_cndmask_b32_e64 v10, 0x7c00, v10, s0
	v_lshlrev_b32_e32 v2, v2, v18
	v_cmp_eq_u32_e64 s0, 0x40f, v16
	v_lshrrev_b32_e32 v16, 16, v1
	v_and_or_b32 v1, 0x1ff, v15, v14
	v_add_nc_u32_e32 v14, 0xfffffc10, v21
	v_bfe_u32 v21, v15, 20, 11
	v_cndmask_b32_e64 v10, v10, v0, s0
	v_mul_f16_sdwa v0, v33, v11 dst_sel:DWORD dst_unused:UNUSED_PAD src0_sel:WORD_1 src1_sel:DWORD
	v_cmp_ne_u32_e64 s0, v2, v17
	v_lshrrev_b32_e32 v17, 8, v15
	v_lshrrev_b32_e32 v15, 16, v15
	v_and_or_b32 v16, 0x8000, v16, v10
	v_fmac_f16_e32 v0, v33, v19
	v_cndmask_b32_e64 v2, 0, 1, s0
	v_cmp_ne_u32_e64 s0, 0, v1
	v_mul_f16_sdwa v19, v33, v19 dst_sel:DWORD dst_unused:UNUSED_PAD src0_sel:WORD_1 src1_sel:DWORD
	v_cvt_f32_f16_e32 v0, v0
	v_or_b32_e32 v2, v18, v2
	v_cndmask_b32_e64 v1, 0, 1, s0
	v_lshl_or_b32 v18, v14, 12, v20
	v_cmp_gt_i32_e64 s0, 1, v14
	v_fma_f16 v11, v33, v11, -v19
	v_and_or_b32 v22, 0xffe, v17, v1
	v_cvt_f64_f32_e32 v[0:1], v0
	v_sub_nc_u32_e32 v17, 0x3f1, v21
	v_cndmask_b32_e64 v2, v18, v2, s0
	v_cvt_f32_f16_e32 v24, v11
	v_or_b32_e32 v18, 0x1000, v22
	v_add_co_u32 v10, s0, v12, s12
	v_med3_i32 v17, v17, 0, 13
	v_and_b32_e32 v19, 7, v2
	v_add_co_ci_u32_e64 v11, s0, s13, v13, s0
	v_cvt_f64_f32_e32 v[12:13], v24
	v_lshrrev_b32_e32 v23, v17, v18
	v_cmp_lt_i32_e64 s0, 5, v19
	v_cmp_eq_u32_e64 s1, 3, v19
	v_lshl_or_b32 v24, v16, 16, v4
	v_lshrrev_b32_e32 v4, 2, v2
	v_lshlrev_b32_e32 v17, v17, v23
	s_or_b32 s0, s1, s0
	v_add_co_ci_u32_e64 v4, s0, 0, v4, s0
	v_mul_f64 v[1:2], v[0:1], s[4:5]
	v_cmp_ne_u32_e64 s2, v17, v18
	v_cmp_ne_u32_e64 s0, 0, v20
	v_add_nc_u32_e32 v0, 0xfffffc10, v21
	v_cndmask_b32_e64 v16, 0, 1, s2
	v_cndmask_b32_e64 v17, 0, 1, s0
	v_cmp_gt_i32_e64 s0, 31, v14
	v_lshl_or_b32 v18, v0, 12, v22
	v_mul_f64 v[12:13], v[12:13], s[4:5]
	v_or_b32_e32 v16, v23, v16
	v_lshl_or_b32 v19, v17, 9, 0x7c00
	v_cndmask_b32_e64 v4, 0x7c00, v4, s0
	v_cmp_gt_i32_e64 s0, 1, v0
	v_cndmask_b32_e64 v18, v18, v16, s0
	v_add_co_u32 v16, s0, v10, s6
	v_and_or_b32 v1, 0x1ff, v2, v1
	v_add_co_ci_u32_e64 v17, s0, s7, v11, s0
	v_and_b32_e32 v20, 7, v18
	v_cmp_eq_u32_e64 s0, 0x40f, v14
	v_cmp_ne_u32_e64 s2, 0, v1
	v_cmp_eq_u32_e64 s1, 3, v20
	v_cndmask_b32_e64 v14, v4, v19, s0
	v_cmp_lt_i32_e64 s0, 5, v20
	v_lshrrev_b32_e32 v19, 16, v3
	v_lshrrev_b32_e32 v3, 2, v18
	v_cndmask_b32_e64 v1, 0, 1, s2
	v_lshrrev_b32_e32 v4, 8, v2
	v_bfe_u32 v18, v2, 20, 11
	s_or_b32 s0, s1, s0
	v_bfe_u32 v23, v13, 20, 11
	v_add_co_ci_u32_e64 v3, s0, 0, v3, s0
	v_and_or_b32 v20, 0xffe, v4, v1
	v_sub_nc_u32_e32 v1, 0x3f1, v18
	v_and_or_b32 v4, 0x1ff, v13, v12
	v_cmp_ne_u32_e64 s0, 0, v22
	v_lshrrev_b32_e32 v22, 8, v13
	v_or_b32_e32 v21, 0x1000, v20
	v_med3_i32 v1, v1, 0, 13
	v_add_nc_u32_e32 v18, 0xfffffc10, v18
	v_cndmask_b32_e64 v12, 0, 1, s0
	v_cmp_ne_u32_e64 s0, 0, v4
	v_and_or_b32 v14, 0x8000, v19, v14
	v_lshrrev_b32_e32 v25, v1, v21
	v_lshl_or_b32 v19, v18, 12, v20
	v_lshl_or_b32 v12, v12, 9, 0x7c00
	v_cndmask_b32_e64 v4, 0, 1, s0
	v_cmp_gt_i32_e64 s0, 31, v0
	v_lshlrev_b32_e32 v1, v1, v25
	v_and_b32_e32 v14, 0xffff, v14
	v_cmp_gt_i32_e64 s2, 31, v18
	v_and_or_b32 v22, 0xffe, v22, v4
	v_cndmask_b32_e64 v3, 0x7c00, v3, s0
	v_sub_nc_u32_e32 v4, 0x3f1, v23
	v_cmp_eq_u32_e64 s0, 0x40f, v0
	v_lshrrev_b32_e32 v2, 16, v2
	v_med3_i32 v26, v4, 0, 13
	v_cndmask_b32_e64 v0, v3, v12, s0
	v_or_b32_e32 v12, 0x1000, v22
	v_cmp_ne_u32_e64 s0, v1, v21
	v_mad_u64_u32 v[3:4], null, s8, v32, 0
	v_and_or_b32 v15, 0x8000, v15, v0
	v_lshrrev_b32_e32 v21, v26, v12
	v_cndmask_b32_e64 v1, 0, 1, s0
	v_cmp_gt_i32_e64 s0, 1, v18
	v_lshl_or_b32 v14, v15, 16, v14
	v_mov_b32_e32 v0, v4
	v_or_b32_e32 v1, v25, v1
	v_lshlrev_b32_e32 v25, v26, v21
	v_cndmask_b32_e64 v19, v19, v1, s0
	v_cmp_ne_u32_e64 s0, v25, v12
	v_add_nc_u32_e32 v12, 0xfffffc10, v23
	v_mad_u64_u32 v[0:1], null, s9, v32, v[0:1]
	v_and_b32_e32 v1, 7, v19
	v_cndmask_b32_e64 v4, 0, 1, s0
	v_cmp_gt_i32_e64 s1, 1, v12
	v_cmp_lt_i32_e64 s0, 5, v1
	v_or_b32_e32 v4, v21, v4
	v_lshl_or_b32 v21, v12, 12, v22
	v_cndmask_b32_e64 v21, v21, v4, s1
	v_cmp_eq_u32_e64 s1, 3, v1
	v_mov_b32_e32 v4, v0
	v_lshrrev_b32_e32 v0, 2, v19
	v_and_b32_e32 v1, 7, v21
	s_or_b32 s0, s1, s0
	v_add_co_ci_u32_e64 v0, s0, 0, v0, s0
	v_cmp_ne_u32_e64 s0, 0, v20
	v_cmp_eq_u32_e64 s1, 3, v1
	v_cndmask_b32_e64 v19, 0x7c00, v0, s2
	v_cndmask_b32_e64 v15, 0, 1, s0
	v_cmp_lt_i32_e64 s0, 5, v1
	v_lshrrev_b32_e32 v1, 2, v21
	v_lshl_or_b32 v15, v15, 9, 0x7c00
	s_or_b32 s0, s1, s0
	v_add_co_ci_u32_e64 v20, s0, 0, v1, s0
	v_cmp_ne_u32_e64 s0, 0, v22
	v_mad_u64_u32 v[0:1], null, 0xf0, s8, v[16:17]
	v_cndmask_b32_e64 v21, 0, 1, s0
	v_cmp_gt_i32_e64 s0, 31, v12
	v_lshl_or_b32 v21, v21, 9, 0x7c00
	v_cndmask_b32_e64 v20, 0x7c00, v20, s0
	v_cmp_eq_u32_e64 s0, 0x40f, v18
	v_cndmask_b32_e64 v15, v19, v15, s0
	v_cmp_eq_u32_e64 s0, 0x40f, v12
	v_lshrrev_b32_e32 v19, 16, v13
	v_and_or_b32 v15, 0x8000, v2, v15
	v_lshlrev_b64 v[2:3], 2, v[3:4]
	v_cndmask_b32_e64 v18, v20, v21, s0
	v_and_b32_e32 v4, 0xffff, v15
	v_mad_u64_u32 v[12:13], null, 0xf0, s9, v[1:2]
	v_and_or_b32 v1, 0x8000, v19, v18
	v_add_co_u32 v2, s0, v5, v2
	v_add_co_ci_u32_e64 v3, s0, v6, v3, s0
	v_lshl_or_b32 v4, v1, 16, v4
	v_mov_b32_e32 v1, v12
	global_store_dword v[10:11], v7, off
	global_store_dword v[16:17], v24, off
	;; [unrolled: 1-line block ×4, first 2 shown]
	s_and_b32 exec_lo, exec_lo, vcc_lo
	s_cbranch_execz .LBB0_23
; %bb.22:
	s_clause 0x2
	global_load_dword v4, v[8:9], off offset:108
	global_load_dword v5, v[8:9], off offset:228
	;; [unrolled: 1-line block ×3, first 2 shown]
	ds_read2_b32 v[2:3], v31 offset0:27 offset1:57
	ds_read_b32 v7, v31 offset:348
	v_add_co_u32 v0, vcc_lo, v0, s6
	v_add_co_ci_u32_e32 v1, vcc_lo, s7, v1, vcc_lo
	v_add_co_u32 v14, vcc_lo, v0, s12
	v_add_co_ci_u32_e32 v15, vcc_lo, s13, v1, vcc_lo
	s_waitcnt lgkmcnt(1)
	v_lshrrev_b32_e32 v8, 16, v2
	v_lshrrev_b32_e32 v10, 16, v3
	s_waitcnt lgkmcnt(0)
	v_lshrrev_b32_e32 v12, 16, v7
	s_waitcnt vmcnt(2)
	v_mul_f16_sdwa v9, v8, v4 dst_sel:DWORD dst_unused:UNUSED_PAD src0_sel:DWORD src1_sel:WORD_1
	v_mul_f16_sdwa v11, v2, v4 dst_sel:DWORD dst_unused:UNUSED_PAD src0_sel:DWORD src1_sel:WORD_1
	s_waitcnt vmcnt(1)
	v_mul_f16_sdwa v13, v10, v5 dst_sel:DWORD dst_unused:UNUSED_PAD src0_sel:DWORD src1_sel:WORD_1
	v_fmac_f16_e32 v9, v2, v4
	v_fma_f16 v2, v4, v8, -v11
	v_mul_f16_sdwa v8, v3, v5 dst_sel:DWORD dst_unused:UNUSED_PAD src0_sel:DWORD src1_sel:WORD_1
	v_fmac_f16_e32 v13, v3, v5
	v_cvt_f32_f16_e32 v4, v9
	v_cvt_f32_f16_e32 v11, v2
	s_waitcnt vmcnt(0)
	v_mul_f16_sdwa v9, v12, v6 dst_sel:DWORD dst_unused:UNUSED_PAD src0_sel:DWORD src1_sel:WORD_1
	v_fma_f16 v8, v5, v10, -v8
	v_mul_f16_sdwa v10, v7, v6 dst_sel:DWORD dst_unused:UNUSED_PAD src0_sel:DWORD src1_sel:WORD_1
	v_cvt_f64_f32_e32 v[2:3], v4
	v_cvt_f32_f16_e32 v13, v13
	v_cvt_f64_f32_e32 v[4:5], v11
	v_fmac_f16_e32 v9, v7, v6
	v_cvt_f32_f16_e32 v8, v8
	v_fma_f16 v10, v6, v12, -v10
	v_cvt_f64_f32_e32 v[6:7], v13
	v_cvt_f32_f16_e32 v11, v9
	v_cvt_f64_f32_e32 v[8:9], v8
	v_cvt_f32_f16_e32 v12, v10
	v_cvt_f64_f32_e32 v[10:11], v11
	v_cvt_f64_f32_e32 v[12:13], v12
	v_mul_f64 v[2:3], v[2:3], s[4:5]
	v_mul_f64 v[4:5], v[4:5], s[4:5]
	;; [unrolled: 1-line block ×6, first 2 shown]
	v_and_or_b32 v2, 0x1ff, v3, v2
	v_lshrrev_b32_e32 v16, 8, v3
	v_and_or_b32 v4, 0x1ff, v5, v4
	v_bfe_u32 v17, v3, 20, 11
	v_lshrrev_b32_e32 v18, 8, v5
	v_cmp_ne_u32_e32 vcc_lo, 0, v2
	v_and_or_b32 v6, 0x1ff, v7, v6
	v_bfe_u32 v19, v5, 20, 11
	v_lshrrev_b32_e32 v20, 8, v7
	v_and_or_b32 v8, 0x1ff, v9, v8
	v_cndmask_b32_e64 v2, 0, 1, vcc_lo
	v_cmp_ne_u32_e32 vcc_lo, 0, v4
	v_bfe_u32 v21, v7, 20, 11
	v_and_or_b32 v10, 0x1ff, v11, v10
	v_bfe_u32 v23, v9, 20, 11
	v_and_or_b32 v12, 0x1ff, v13, v12
	v_cndmask_b32_e64 v4, 0, 1, vcc_lo
	v_cmp_ne_u32_e32 vcc_lo, 0, v6
	v_and_or_b32 v2, 0xffe, v16, v2
	v_sub_nc_u32_e32 v28, 0x3f1, v17
	v_add_nc_u32_e32 v17, 0xfffffc10, v17
	v_sub_nc_u32_e32 v29, 0x3f1, v19
	v_cndmask_b32_e64 v6, 0, 1, vcc_lo
	v_cmp_ne_u32_e32 vcc_lo, 0, v8
	v_and_or_b32 v4, 0xffe, v18, v4
	v_lshrrev_b32_e32 v22, 8, v9
	v_bfe_u32 v25, v11, 20, 11
	v_bfe_u32 v27, v13, 20, 11
	v_cndmask_b32_e64 v8, 0, 1, vcc_lo
	v_cmp_ne_u32_e32 vcc_lo, 0, v10
	v_add_nc_u32_e32 v19, 0xfffffc10, v19
	v_sub_nc_u32_e32 v30, 0x3f1, v21
	v_sub_nc_u32_e32 v31, 0x3f1, v23
	v_med3_i32 v16, v28, 0, 13
	v_cndmask_b32_e64 v10, 0, 1, vcc_lo
	v_cmp_ne_u32_e32 vcc_lo, 0, v12
	v_med3_i32 v18, v29, 0, 13
	v_and_or_b32 v6, 0xffe, v20, v6
	v_or_b32_e32 v28, 0x1000, v2
	v_lshl_or_b32 v29, v17, 12, v2
	v_cndmask_b32_e64 v12, 0, 1, vcc_lo
	v_cmp_ne_u32_e32 vcc_lo, 0, v2
	v_lshrrev_b32_e32 v24, 8, v11
	v_lshrrev_b32_e32 v26, 8, v13
	v_add_nc_u32_e32 v21, 0xfffffc10, v21
	v_sub_nc_u32_e32 v32, 0x3f1, v25
	v_cndmask_b32_e64 v2, 0, 1, vcc_lo
	v_cmp_ne_u32_e32 vcc_lo, 0, v4
	v_sub_nc_u32_e32 v33, 0x3f1, v27
	v_med3_i32 v20, v30, 0, 13
	v_and_or_b32 v8, 0xffe, v22, v8
	v_med3_i32 v22, v31, 0, 13
	v_or_b32_e32 v30, 0x1000, v4
	v_lshl_or_b32 v31, v19, 12, v4
	v_cndmask_b32_e64 v4, 0, 1, vcc_lo
	v_cmp_ne_u32_e32 vcc_lo, 0, v6
	v_add_nc_u32_e32 v23, 0xfffffc10, v23
	v_and_or_b32 v10, 0xffe, v24, v10
	v_med3_i32 v24, v32, 0, 13
	v_and_or_b32 v12, 0xffe, v26, v12
	v_med3_i32 v26, v33, 0, 13
	v_or_b32_e32 v32, 0x1000, v6
	v_lshl_or_b32 v33, v21, 12, v6
	v_cndmask_b32_e64 v6, 0, 1, vcc_lo
	v_cmp_ne_u32_e32 vcc_lo, 0, v8
	v_add_nc_u32_e32 v25, 0xfffffc10, v25
	v_or_b32_e32 v34, 0x1000, v8
	v_lshl_or_b32 v35, v23, 12, v8
	v_lshrrev_b32_e32 v40, v16, v28
	v_cndmask_b32_e64 v8, 0, 1, vcc_lo
	v_cmp_ne_u32_e32 vcc_lo, 0, v10
	v_add_nc_u32_e32 v27, 0xfffffc10, v27
	v_or_b32_e32 v36, 0x1000, v10
	v_lshl_or_b32 v37, v25, 12, v10
	v_lshrrev_b32_e32 v41, v18, v30
	v_cndmask_b32_e64 v10, 0, 1, vcc_lo
	v_cmp_ne_u32_e32 vcc_lo, 0, v12
	v_lshlrev_b32_e32 v16, v16, v40
	v_or_b32_e32 v38, 0x1000, v12
	v_lshl_or_b32 v39, v27, 12, v12
	v_lshrrev_b32_e32 v42, v20, v32
	v_cndmask_b32_e64 v12, 0, 1, vcc_lo
	v_lshlrev_b32_e32 v18, v18, v41
	v_cmp_ne_u32_e32 vcc_lo, v16, v28
	v_lshrrev_b32_e32 v43, v22, v34
	v_lshlrev_b32_e32 v20, v20, v42
	v_lshrrev_b32_e32 v44, v24, v36
	v_lshrrev_b32_e32 v45, v26, v38
	v_cndmask_b32_e64 v16, 0, 1, vcc_lo
	v_cmp_ne_u32_e32 vcc_lo, v18, v30
	v_lshlrev_b32_e32 v22, v22, v43
	v_lshlrev_b32_e32 v24, v24, v44
	;; [unrolled: 1-line block ×3, first 2 shown]
	v_or_b32_e32 v16, v40, v16
	v_cndmask_b32_e64 v18, 0, 1, vcc_lo
	v_cmp_ne_u32_e32 vcc_lo, v20, v32
	v_lshl_or_b32 v2, v2, 9, 0x7c00
	v_lshl_or_b32 v4, v4, 9, 0x7c00
	;; [unrolled: 1-line block ×3, first 2 shown]
	v_or_b32_e32 v18, v41, v18
	v_cndmask_b32_e64 v20, 0, 1, vcc_lo
	v_cmp_ne_u32_e32 vcc_lo, v22, v34
	v_lshl_or_b32 v8, v8, 9, 0x7c00
	v_lshl_or_b32 v10, v10, 9, 0x7c00
	v_lshrrev_b32_e32 v3, 16, v3
	v_or_b32_e32 v20, v42, v20
	v_cndmask_b32_e64 v22, 0, 1, vcc_lo
	v_cmp_ne_u32_e32 vcc_lo, v24, v36
	v_lshrrev_b32_e32 v7, 16, v7
	v_lshrrev_b32_e32 v5, 16, v5
	;; [unrolled: 1-line block ×3, first 2 shown]
	v_or_b32_e32 v22, v43, v22
	v_cndmask_b32_e64 v24, 0, 1, vcc_lo
	v_cmp_ne_u32_e32 vcc_lo, v26, v38
	v_lshl_or_b32 v12, v12, 9, 0x7c00
	v_lshrrev_b32_e32 v9, 16, v9
	v_lshrrev_b32_e32 v13, 16, v13
	v_or_b32_e32 v24, v44, v24
	v_cndmask_b32_e64 v26, 0, 1, vcc_lo
	v_cmp_gt_i32_e32 vcc_lo, 1, v17
	v_or_b32_e32 v26, v45, v26
	v_cndmask_b32_e32 v16, v29, v16, vcc_lo
	v_cmp_gt_i32_e32 vcc_lo, 1, v19
	v_and_b32_e32 v28, 7, v16
	v_cndmask_b32_e32 v18, v31, v18, vcc_lo
	v_cmp_gt_i32_e32 vcc_lo, 1, v21
	v_lshrrev_b32_e32 v16, 2, v16
	v_cmp_eq_u32_e64 s0, 3, v28
	v_and_b32_e32 v29, 7, v18
	v_cndmask_b32_e32 v20, v33, v20, vcc_lo
	v_cmp_gt_i32_e32 vcc_lo, 1, v23
	v_lshrrev_b32_e32 v18, 2, v18
	v_cmp_lt_i32_e64 s1, 5, v29
	v_and_b32_e32 v30, 7, v20
	v_cndmask_b32_e32 v22, v35, v22, vcc_lo
	v_cmp_gt_i32_e32 vcc_lo, 1, v25
	v_cmp_eq_u32_e64 s2, 3, v29
	v_lshrrev_b32_e32 v20, 2, v20
	v_cmp_lt_i32_e64 s3, 5, v30
	v_and_b32_e32 v31, 7, v22
	v_cndmask_b32_e32 v24, v37, v24, vcc_lo
	v_cmp_gt_i32_e32 vcc_lo, 1, v27
	v_cmp_eq_u32_e64 s4, 3, v30
	v_lshrrev_b32_e32 v22, 2, v22
	v_cmp_lt_i32_e64 s5, 5, v31
	v_and_b32_e32 v32, 7, v24
	v_cndmask_b32_e32 v26, v39, v26, vcc_lo
	v_cmp_lt_i32_e32 vcc_lo, 5, v28
	v_cmp_eq_u32_e64 s6, 3, v31
	v_lshrrev_b32_e32 v24, 2, v24
	v_cmp_lt_i32_e64 s7, 5, v32
	v_and_b32_e32 v33, 7, v26
	s_or_b32 vcc_lo, s0, vcc_lo
	v_cmp_eq_u32_e64 s8, 3, v32
	v_add_co_ci_u32_e32 v16, vcc_lo, 0, v16, vcc_lo
	s_or_b32 vcc_lo, s2, s1
	v_cmp_lt_i32_e64 s9, 5, v33
	v_add_co_ci_u32_e32 v18, vcc_lo, 0, v18, vcc_lo
	s_or_b32 vcc_lo, s4, s3
	v_cmp_eq_u32_e64 s10, 3, v33
	v_add_co_ci_u32_e32 v20, vcc_lo, 0, v20, vcc_lo
	s_or_b32 vcc_lo, s6, s5
	v_lshrrev_b32_e32 v26, 2, v26
	v_add_co_ci_u32_e32 v22, vcc_lo, 0, v22, vcc_lo
	s_or_b32 vcc_lo, s8, s7
	v_add_co_ci_u32_e32 v24, vcc_lo, 0, v24, vcc_lo
	s_or_b32 vcc_lo, s10, s9
	v_add_co_ci_u32_e32 v26, vcc_lo, 0, v26, vcc_lo
	v_cmp_gt_i32_e32 vcc_lo, 31, v17
	v_cndmask_b32_e32 v16, 0x7c00, v16, vcc_lo
	v_cmp_gt_i32_e32 vcc_lo, 31, v19
	v_cndmask_b32_e32 v18, 0x7c00, v18, vcc_lo
	;; [unrolled: 2-line block ×6, first 2 shown]
	v_cmp_eq_u32_e32 vcc_lo, 0x40f, v17
	v_cndmask_b32_e32 v2, v16, v2, vcc_lo
	v_cmp_eq_u32_e32 vcc_lo, 0x40f, v19
	v_and_or_b32 v2, 0x8000, v3, v2
	v_cndmask_b32_e32 v4, v18, v4, vcc_lo
	v_cmp_eq_u32_e32 vcc_lo, 0x40f, v21
	v_and_or_b32 v4, 0x8000, v5, v4
	;; [unrolled: 3-line block ×4, first 2 shown]
	v_cndmask_b32_e32 v10, v24, v10, vcc_lo
	v_cmp_eq_u32_e32 vcc_lo, 0x40f, v27
	v_and_b32_e32 v8, 0xffff, v2
	v_and_b32_e32 v9, 0xffff, v3
	v_and_or_b32 v5, 0x8000, v11, v10
	v_cndmask_b32_e32 v12, v26, v12, vcc_lo
	v_add_co_u32 v2, vcc_lo, v14, s12
	v_lshl_or_b32 v4, v4, 16, v8
	v_and_b32_e32 v5, 0xffff, v5
	v_and_or_b32 v7, 0x8000, v13, v12
	v_lshl_or_b32 v6, v6, 16, v9
	v_add_co_ci_u32_e32 v3, vcc_lo, s13, v15, vcc_lo
	v_lshl_or_b32 v5, v7, 16, v5
	global_store_dword v[0:1], v4, off
	global_store_dword v[14:15], v6, off
	;; [unrolled: 1-line block ×3, first 2 shown]
.LBB0_23:
	s_endpgm
	.section	.rodata,"a",@progbits
	.p2align	6, 0x0
	.amdhsa_kernel bluestein_single_back_len90_dim1_half_op_CI_CI
		.amdhsa_group_segment_fixed_size 2520
		.amdhsa_private_segment_fixed_size 0
		.amdhsa_kernarg_size 104
		.amdhsa_user_sgpr_count 6
		.amdhsa_user_sgpr_private_segment_buffer 1
		.amdhsa_user_sgpr_dispatch_ptr 0
		.amdhsa_user_sgpr_queue_ptr 0
		.amdhsa_user_sgpr_kernarg_segment_ptr 1
		.amdhsa_user_sgpr_dispatch_id 0
		.amdhsa_user_sgpr_flat_scratch_init 0
		.amdhsa_user_sgpr_private_segment_size 0
		.amdhsa_wavefront_size32 1
		.amdhsa_uses_dynamic_stack 0
		.amdhsa_system_sgpr_private_segment_wavefront_offset 0
		.amdhsa_system_sgpr_workgroup_id_x 1
		.amdhsa_system_sgpr_workgroup_id_y 0
		.amdhsa_system_sgpr_workgroup_id_z 0
		.amdhsa_system_sgpr_workgroup_info 0
		.amdhsa_system_vgpr_workitem_id 0
		.amdhsa_next_free_vgpr 98
		.amdhsa_next_free_sgpr 18
		.amdhsa_reserve_vcc 1
		.amdhsa_reserve_flat_scratch 0
		.amdhsa_float_round_mode_32 0
		.amdhsa_float_round_mode_16_64 0
		.amdhsa_float_denorm_mode_32 3
		.amdhsa_float_denorm_mode_16_64 3
		.amdhsa_dx10_clamp 1
		.amdhsa_ieee_mode 1
		.amdhsa_fp16_overflow 0
		.amdhsa_workgroup_processor_mode 1
		.amdhsa_memory_ordered 1
		.amdhsa_forward_progress 0
		.amdhsa_shared_vgpr_count 0
		.amdhsa_exception_fp_ieee_invalid_op 0
		.amdhsa_exception_fp_denorm_src 0
		.amdhsa_exception_fp_ieee_div_zero 0
		.amdhsa_exception_fp_ieee_overflow 0
		.amdhsa_exception_fp_ieee_underflow 0
		.amdhsa_exception_fp_ieee_inexact 0
		.amdhsa_exception_int_div_zero 0
	.end_amdhsa_kernel
	.text
.Lfunc_end0:
	.size	bluestein_single_back_len90_dim1_half_op_CI_CI, .Lfunc_end0-bluestein_single_back_len90_dim1_half_op_CI_CI
                                        ; -- End function
	.section	.AMDGPU.csdata,"",@progbits
; Kernel info:
; codeLenInByte = 15832
; NumSgprs: 20
; NumVgprs: 98
; ScratchSize: 0
; MemoryBound: 0
; FloatMode: 240
; IeeeMode: 1
; LDSByteSize: 2520 bytes/workgroup (compile time only)
; SGPRBlocks: 2
; VGPRBlocks: 12
; NumSGPRsForWavesPerEU: 20
; NumVGPRsForWavesPerEU: 98
; Occupancy: 9
; WaveLimiterHint : 1
; COMPUTE_PGM_RSRC2:SCRATCH_EN: 0
; COMPUTE_PGM_RSRC2:USER_SGPR: 6
; COMPUTE_PGM_RSRC2:TRAP_HANDLER: 0
; COMPUTE_PGM_RSRC2:TGID_X_EN: 1
; COMPUTE_PGM_RSRC2:TGID_Y_EN: 0
; COMPUTE_PGM_RSRC2:TGID_Z_EN: 0
; COMPUTE_PGM_RSRC2:TIDIG_COMP_CNT: 0
	.text
	.p2alignl 6, 3214868480
	.fill 48, 4, 3214868480
	.type	__hip_cuid_be82bc9ecbd2bfe7,@object ; @__hip_cuid_be82bc9ecbd2bfe7
	.section	.bss,"aw",@nobits
	.globl	__hip_cuid_be82bc9ecbd2bfe7
__hip_cuid_be82bc9ecbd2bfe7:
	.byte	0                               ; 0x0
	.size	__hip_cuid_be82bc9ecbd2bfe7, 1

	.ident	"AMD clang version 19.0.0git (https://github.com/RadeonOpenCompute/llvm-project roc-6.4.0 25133 c7fe45cf4b819c5991fe208aaa96edf142730f1d)"
	.section	".note.GNU-stack","",@progbits
	.addrsig
	.addrsig_sym __hip_cuid_be82bc9ecbd2bfe7
	.amdgpu_metadata
---
amdhsa.kernels:
  - .args:
      - .actual_access:  read_only
        .address_space:  global
        .offset:         0
        .size:           8
        .value_kind:     global_buffer
      - .actual_access:  read_only
        .address_space:  global
        .offset:         8
        .size:           8
        .value_kind:     global_buffer
      - .actual_access:  read_only
        .address_space:  global
        .offset:         16
        .size:           8
        .value_kind:     global_buffer
      - .actual_access:  read_only
        .address_space:  global
        .offset:         24
        .size:           8
        .value_kind:     global_buffer
      - .actual_access:  read_only
        .address_space:  global
        .offset:         32
        .size:           8
        .value_kind:     global_buffer
      - .offset:         40
        .size:           8
        .value_kind:     by_value
      - .address_space:  global
        .offset:         48
        .size:           8
        .value_kind:     global_buffer
      - .address_space:  global
        .offset:         56
        .size:           8
        .value_kind:     global_buffer
      - .address_space:  global
        .offset:         64
        .size:           8
        .value_kind:     global_buffer
      - .address_space:  global
        .offset:         72
        .size:           8
        .value_kind:     global_buffer
      - .offset:         80
        .size:           4
        .value_kind:     by_value
      - .address_space:  global
        .offset:         88
        .size:           8
        .value_kind:     global_buffer
      - .address_space:  global
        .offset:         96
        .size:           8
        .value_kind:     global_buffer
    .group_segment_fixed_size: 2520
    .kernarg_segment_align: 8
    .kernarg_segment_size: 104
    .language:       OpenCL C
    .language_version:
      - 2
      - 0
    .max_flat_workgroup_size: 63
    .name:           bluestein_single_back_len90_dim1_half_op_CI_CI
    .private_segment_fixed_size: 0
    .sgpr_count:     20
    .sgpr_spill_count: 0
    .symbol:         bluestein_single_back_len90_dim1_half_op_CI_CI.kd
    .uniform_work_group_size: 1
    .uses_dynamic_stack: false
    .vgpr_count:     98
    .vgpr_spill_count: 0
    .wavefront_size: 32
    .workgroup_processor_mode: 1
amdhsa.target:   amdgcn-amd-amdhsa--gfx1030
amdhsa.version:
  - 1
  - 2
...

	.end_amdgpu_metadata
